;; amdgpu-corpus repo=ROCm/vllm kind=compiled arch=gfx1100 opt=O3
	.text
	.amdgcn_target "amdgcn-amd-amdhsa--gfx1100"
	.amdhsa_code_object_version 6
	.section	.text._Z14LLGemm1_kernelIN3c104HalfELi2EEvPKT_S4_PS2_i,"axG",@progbits,_Z14LLGemm1_kernelIN3c104HalfELi2EEvPKT_S4_PS2_i,comdat
	.protected	_Z14LLGemm1_kernelIN3c104HalfELi2EEvPKT_S4_PS2_i ; -- Begin function _Z14LLGemm1_kernelIN3c104HalfELi2EEvPKT_S4_PS2_i
	.globl	_Z14LLGemm1_kernelIN3c104HalfELi2EEvPKT_S4_PS2_i
	.p2align	8
	.type	_Z14LLGemm1_kernelIN3c104HalfELi2EEvPKT_S4_PS2_i,@function
_Z14LLGemm1_kernelIN3c104HalfELi2EEvPKT_S4_PS2_i: ; @_Z14LLGemm1_kernelIN3c104HalfELi2EEvPKT_S4_PS2_i
; %bb.0:
	s_clause 0x2
	s_load_b32 s2, s[0:1], 0x18
	s_load_b128 s[4:7], s[0:1], 0x0
	s_load_b64 s[8:9], s[0:1], 0x10
	v_lshlrev_b32_e32 v13, 3, v0
                                        ; implicit-def: $vgpr4
                                        ; implicit-def: $vgpr5
                                        ; implicit-def: $vgpr9
	s_waitcnt lgkmcnt(0)
	s_delay_alu instid0(VALU_DEP_1)
	v_cmp_gt_i32_e32 vcc_lo, s2, v13
	s_and_saveexec_b32 s3, vcc_lo
	s_cbranch_execz .LBB0_2
; %bb.1:
	s_mul_i32 s10, s15, s2
	s_mov_b32 s11, 0
	s_bfe_u32 s10, s10, 0x1d0002
	s_delay_alu instid0(SALU_CYCLE_1) | instskip(SKIP_2) | instid1(VALU_DEP_2)
	v_dual_mov_b32 v2, 0 :: v_dual_add_nc_u32 v1, s10, v0
	s_lshr_b32 s10, s2, 3
	v_lshlrev_b32_e32 v14, 4, v0
	v_lshlrev_b64 v[1:2], 4, v[1:2]
	s_delay_alu instid0(VALU_DEP_1) | instskip(NEXT) | instid1(VALU_DEP_1)
	v_add_co_u32 v1, s2, s4, v1
	v_add_co_ci_u32_e64 v2, s2, s5, v2, s2
	s_lshl_b64 s[4:5], s[10:11], 4
	s_delay_alu instid0(VALU_DEP_2) | instid1(SALU_CYCLE_1)
	v_add_co_u32 v3, s2, v1, s4
	s_delay_alu instid0(VALU_DEP_1)
	v_add_co_ci_u32_e64 v4, s2, s5, v2, s2
	s_clause 0x1
	global_load_b128 v[9:12], v[1:2], off slc dlc
	global_load_b128 v[5:8], v[3:4], off slc dlc
	global_load_b128 v[1:4], v14, s[6:7]
.LBB0_2:
	s_or_b32 exec_lo, exec_lo, s3
	s_waitcnt vmcnt(0)
	v_pk_mul_f16 v9, v1, v9
	v_pk_mul_f16 v1, v1, v5
	s_delay_alu instid0(VALU_DEP_2) | instskip(NEXT) | instid1(VALU_DEP_2)
	v_pk_fma_f16 v5, v10, v2, v9
	v_pk_fma_f16 v1, v6, v2, v1
	s_delay_alu instid0(VALU_DEP_2) | instskip(NEXT) | instid1(VALU_DEP_2)
	v_pk_fma_f16 v2, v11, v3, v5
	v_pk_fma_f16 v1, v7, v3, v1
	v_mbcnt_lo_u32_b32 v5, -1, 0
	s_delay_alu instid0(VALU_DEP_3) | instskip(NEXT) | instid1(VALU_DEP_3)
	v_pk_fma_f16 v2, v12, v4, v2
	v_pk_fma_f16 v1, v8, v4, v1
	s_delay_alu instid0(VALU_DEP_3) | instskip(SKIP_1) | instid1(VALU_DEP_4)
	v_xor_b32_e32 v6, 16, v5
	v_xor_b32_e32 v10, 1, v5
	v_lshrrev_b32_e32 v3, 16, v2
	s_delay_alu instid0(VALU_DEP_4)
	v_lshrrev_b32_e32 v4, 16, v1
	v_cvt_f32_f16_e32 v2, v2
	v_cvt_f32_f16_e32 v1, v1
	v_cmp_gt_i32_e64 s2, 32, v6
	v_cvt_f32_f16_e32 v3, v3
	v_cvt_f32_f16_e32 v4, v4
	s_delay_alu instid0(VALU_DEP_3) | instskip(NEXT) | instid1(VALU_DEP_2)
	v_cndmask_b32_e64 v6, v5, v6, s2
	v_dual_add_f32 v2, v2, v3 :: v_dual_add_f32 v3, v1, v4
	s_mov_b32 s2, exec_lo
	s_delay_alu instid0(VALU_DEP_1) | instskip(NEXT) | instid1(VALU_DEP_3)
	v_dual_cndmask_b32 v4, 0, v2 :: v_dual_cndmask_b32 v3, 0, v3
	v_lshlrev_b32_e32 v1, 2, v6
	v_xor_b32_e32 v2, 8, v5
	ds_bpermute_b32 v6, v1, v4
	ds_bpermute_b32 v7, v1, v3
	v_cmp_gt_i32_e32 vcc_lo, 32, v2
	v_cndmask_b32_e32 v2, v5, v2, vcc_lo
	s_waitcnt lgkmcnt(1)
	v_add_f32_e32 v4, v4, v6
	s_waitcnt lgkmcnt(0)
	v_add_f32_e32 v6, v3, v7
	v_xor_b32_e32 v3, 4, v5
	s_delay_alu instid0(VALU_DEP_1) | instskip(SKIP_1) | instid1(VALU_DEP_1)
	v_cmp_gt_i32_e32 vcc_lo, 32, v3
	v_cndmask_b32_e32 v3, v5, v3, vcc_lo
	v_lshlrev_b32_e32 v3, 2, v3
	v_lshlrev_b32_e32 v2, 2, v2
	ds_bpermute_b32 v7, v2, v4
	s_waitcnt lgkmcnt(0)
	v_add_f32_e32 v7, v4, v7
	ds_bpermute_b32 v8, v2, v6
	v_xor_b32_e32 v4, 2, v5
	s_delay_alu instid0(VALU_DEP_1)
	v_cmp_gt_i32_e32 vcc_lo, 32, v4
	v_cndmask_b32_e32 v4, v5, v4, vcc_lo
	v_cmp_gt_i32_e32 vcc_lo, 32, v10
	s_waitcnt lgkmcnt(0)
	v_dual_cndmask_b32 v5, v5, v10 :: v_dual_add_f32 v6, v6, v8
	ds_bpermute_b32 v8, v3, v7
	v_lshlrev_b32_e32 v5, 2, v5
	v_lshlrev_b32_e32 v4, 2, v4
	ds_bpermute_b32 v9, v3, v6
	s_waitcnt lgkmcnt(0)
	v_dual_add_f32 v7, v7, v8 :: v_dual_add_f32 v6, v6, v9
	ds_bpermute_b32 v8, v4, v7
	ds_bpermute_b32 v9, v4, v6
	s_waitcnt lgkmcnt(0)
	v_dual_add_f32 v7, v7, v8 :: v_dual_add_f32 v8, v6, v9
	ds_bpermute_b32 v9, v5, v7
	v_and_b32_e32 v6, 31, v0
	ds_bpermute_b32 v10, v5, v8
	v_cmpx_gt_u32_e32 2, v6
	s_cbranch_execz .LBB0_4
; %bb.3:
	v_lshrrev_b32_e32 v11, 3, v0
	s_waitcnt lgkmcnt(1)
	v_add_f32_e32 v7, v7, v9
	v_cmp_eq_u32_e32 vcc_lo, 1, v6
	s_waitcnt lgkmcnt(0)
	v_dual_add_f32 v8, v8, v10 :: v_dual_and_b32 v11, 0x7c, v11
	s_delay_alu instid0(VALU_DEP_1) | instskip(NEXT) | instid1(VALU_DEP_2)
	v_cndmask_b32_e32 v7, v7, v8, vcc_lo
	v_lshl_or_b32 v9, v6, 7, v11
	ds_store_b32 v9, v7
.LBB0_4:
	s_or_b32 exec_lo, exec_lo, s2
	s_waitcnt lgkmcnt(0)
	s_barrier
	buffer_gl0_inv
	s_mov_b32 s2, exec_lo
	v_cmpx_gt_u32_e32 32, v0
	s_cbranch_execz .LBB0_9
; %bb.5:
	s_load_b32 s0, s[0:1], 0x2c
	v_dual_mov_b32 v0, 0 :: v_dual_and_b32 v7, 15, v0
	s_waitcnt lgkmcnt(0)
	s_and_b32 s0, 0xffff, s0
	s_delay_alu instid0(SALU_CYCLE_1)
	s_lshr_b32 s0, s0, 5
	s_delay_alu instid0(VALU_DEP_1) | instid1(SALU_CYCLE_1)
	v_cmp_gt_u32_e32 vcc_lo, s0, v7
	s_and_saveexec_b32 s0, vcc_lo
	s_cbranch_execz .LBB0_7
; %bb.6:
	v_lshlrev_b32_e32 v0, 2, v7
	s_delay_alu instid0(VALU_DEP_1)
	v_and_or_b32 v0, 0x1f80, v13, v0
	ds_load_b32 v0, v0
.LBB0_7:
	s_or_b32 exec_lo, exec_lo, s0
	s_waitcnt lgkmcnt(0)
	ds_bpermute_b32 v2, v2, v0
	v_cmp_eq_u32_e32 vcc_lo, 0, v6
	s_mov_b32 s1, 0
	s_waitcnt lgkmcnt(0)
	v_add_f32_e32 v0, v0, v2
	ds_bpermute_b32 v2, v3, v0
	s_waitcnt lgkmcnt(0)
	v_add_f32_e32 v0, v0, v2
	ds_bpermute_b32 v2, v4, v0
	;; [unrolled: 3-line block ×4, first 2 shown]
	s_and_b32 exec_lo, exec_lo, vcc_lo
	s_cbranch_execz .LBB0_9
; %bb.8:
	v_cvt_f16_f32_e32 v0, v0
	s_waitcnt lgkmcnt(0)
	v_cvt_f16_f32_e32 v1, v1
	s_and_b32 s0, s15, 0x7fffffff
	s_delay_alu instid0(SALU_CYCLE_1) | instskip(NEXT) | instid1(VALU_DEP_1)
	s_lshl_b64 s[0:1], s[0:1], 2
	v_pack_b32_f16 v0, v0, v1
	v_mov_b32_e32 v1, 0
	s_add_u32 s0, s8, s0
	s_addc_u32 s1, s9, s1
	global_store_b32 v1, v0, s[0:1]
.LBB0_9:
	s_nop 0
	s_sendmsg sendmsg(MSG_DEALLOC_VGPRS)
	s_endpgm
	.section	.rodata,"a",@progbits
	.p2align	6, 0x0
	.amdhsa_kernel _Z14LLGemm1_kernelIN3c104HalfELi2EEvPKT_S4_PS2_i
		.amdhsa_group_segment_fixed_size 256
		.amdhsa_private_segment_fixed_size 0
		.amdhsa_kernarg_size 288
		.amdhsa_user_sgpr_count 15
		.amdhsa_user_sgpr_dispatch_ptr 0
		.amdhsa_user_sgpr_queue_ptr 0
		.amdhsa_user_sgpr_kernarg_segment_ptr 1
		.amdhsa_user_sgpr_dispatch_id 0
		.amdhsa_user_sgpr_private_segment_size 0
		.amdhsa_wavefront_size32 1
		.amdhsa_uses_dynamic_stack 0
		.amdhsa_enable_private_segment 0
		.amdhsa_system_sgpr_workgroup_id_x 1
		.amdhsa_system_sgpr_workgroup_id_y 0
		.amdhsa_system_sgpr_workgroup_id_z 0
		.amdhsa_system_sgpr_workgroup_info 0
		.amdhsa_system_vgpr_workitem_id 0
		.amdhsa_next_free_vgpr 15
		.amdhsa_next_free_sgpr 16
		.amdhsa_reserve_vcc 1
		.amdhsa_float_round_mode_32 0
		.amdhsa_float_round_mode_16_64 0
		.amdhsa_float_denorm_mode_32 3
		.amdhsa_float_denorm_mode_16_64 3
		.amdhsa_dx10_clamp 1
		.amdhsa_ieee_mode 1
		.amdhsa_fp16_overflow 0
		.amdhsa_workgroup_processor_mode 1
		.amdhsa_memory_ordered 1
		.amdhsa_forward_progress 0
		.amdhsa_shared_vgpr_count 0
		.amdhsa_exception_fp_ieee_invalid_op 0
		.amdhsa_exception_fp_denorm_src 0
		.amdhsa_exception_fp_ieee_div_zero 0
		.amdhsa_exception_fp_ieee_overflow 0
		.amdhsa_exception_fp_ieee_underflow 0
		.amdhsa_exception_fp_ieee_inexact 0
		.amdhsa_exception_int_div_zero 0
	.end_amdhsa_kernel
	.section	.text._Z14LLGemm1_kernelIN3c104HalfELi2EEvPKT_S4_PS2_i,"axG",@progbits,_Z14LLGemm1_kernelIN3c104HalfELi2EEvPKT_S4_PS2_i,comdat
.Lfunc_end0:
	.size	_Z14LLGemm1_kernelIN3c104HalfELi2EEvPKT_S4_PS2_i, .Lfunc_end0-_Z14LLGemm1_kernelIN3c104HalfELi2EEvPKT_S4_PS2_i
                                        ; -- End function
	.section	.AMDGPU.csdata,"",@progbits
; Kernel info:
; codeLenInByte = 900
; NumSgprs: 18
; NumVgprs: 15
; ScratchSize: 0
; MemoryBound: 0
; FloatMode: 240
; IeeeMode: 1
; LDSByteSize: 256 bytes/workgroup (compile time only)
; SGPRBlocks: 2
; VGPRBlocks: 1
; NumSGPRsForWavesPerEU: 18
; NumVGPRsForWavesPerEU: 15
; Occupancy: 16
; WaveLimiterHint : 0
; COMPUTE_PGM_RSRC2:SCRATCH_EN: 0
; COMPUTE_PGM_RSRC2:USER_SGPR: 15
; COMPUTE_PGM_RSRC2:TRAP_HANDLER: 0
; COMPUTE_PGM_RSRC2:TGID_X_EN: 1
; COMPUTE_PGM_RSRC2:TGID_Y_EN: 0
; COMPUTE_PGM_RSRC2:TGID_Z_EN: 0
; COMPUTE_PGM_RSRC2:TIDIG_COMP_CNT: 0
	.section	.text._Z14LLGemm1_kernelIN3c104HalfELi4EEvPKT_S4_PS2_i,"axG",@progbits,_Z14LLGemm1_kernelIN3c104HalfELi4EEvPKT_S4_PS2_i,comdat
	.protected	_Z14LLGemm1_kernelIN3c104HalfELi4EEvPKT_S4_PS2_i ; -- Begin function _Z14LLGemm1_kernelIN3c104HalfELi4EEvPKT_S4_PS2_i
	.globl	_Z14LLGemm1_kernelIN3c104HalfELi4EEvPKT_S4_PS2_i
	.p2align	8
	.type	_Z14LLGemm1_kernelIN3c104HalfELi4EEvPKT_S4_PS2_i,@function
_Z14LLGemm1_kernelIN3c104HalfELi4EEvPKT_S4_PS2_i: ; @_Z14LLGemm1_kernelIN3c104HalfELi4EEvPKT_S4_PS2_i
; %bb.0:
	s_clause 0x2
	s_load_b32 s2, s[0:1], 0x18
	s_load_b128 s[4:7], s[0:1], 0x0
	s_load_b64 s[8:9], s[0:1], 0x10
	v_lshlrev_b32_e32 v21, 3, v0
                                        ; implicit-def: $vgpr4
                                        ; implicit-def: $vgpr5
                                        ; implicit-def: $vgpr9
                                        ; implicit-def: $vgpr13
                                        ; implicit-def: $vgpr17
	s_waitcnt lgkmcnt(0)
	s_delay_alu instid0(VALU_DEP_1)
	v_cmp_gt_i32_e32 vcc_lo, s2, v21
	s_and_saveexec_b32 s3, vcc_lo
	s_cbranch_execz .LBB1_2
; %bb.1:
	s_mul_i32 s10, s15, s2
	s_mov_b32 s11, 0
	s_bfe_u32 s10, s10, 0x1d0001
	s_delay_alu instid0(SALU_CYCLE_1) | instskip(SKIP_3) | instid1(VALU_DEP_2)
	v_dual_mov_b32 v2, 0 :: v_dual_add_nc_u32 v1, s10, v0
	s_lshr_b32 s10, s2, 3
	v_lshlrev_b32_e32 v22, 4, v0
	s_lshl_b64 s[12:13], s[10:11], 4
	v_lshlrev_b64 v[3:4], 4, v[1:2]
	v_add3_u32 v1, s10, s10, v1
	s_delay_alu instid0(VALU_DEP_1) | instskip(SKIP_1) | instid1(VALU_DEP_4)
	v_lshlrev_b64 v[5:6], 4, v[1:2]
	v_add_nc_u32_e32 v1, s10, v1
	v_add_co_u32 v3, s2, s4, v3
	s_delay_alu instid0(VALU_DEP_1) | instskip(NEXT) | instid1(VALU_DEP_3)
	v_add_co_ci_u32_e64 v4, s2, s5, v4, s2
	v_lshlrev_b64 v[1:2], 4, v[1:2]
	s_delay_alu instid0(VALU_DEP_3) | instskip(NEXT) | instid1(VALU_DEP_1)
	v_add_co_u32 v7, s2, v3, s12
	v_add_co_ci_u32_e64 v8, s2, s13, v4, s2
	v_add_co_u32 v5, s2, s4, v5
	s_delay_alu instid0(VALU_DEP_1) | instskip(SKIP_1) | instid1(VALU_DEP_1)
	v_add_co_ci_u32_e64 v6, s2, s5, v6, s2
	v_add_co_u32 v1, s2, s4, v1
	v_add_co_ci_u32_e64 v2, s2, s5, v2, s2
	s_clause 0x3
	global_load_b128 v[17:20], v[3:4], off slc dlc
	global_load_b128 v[13:16], v[7:8], off slc dlc
	;; [unrolled: 1-line block ×4, first 2 shown]
	global_load_b128 v[1:4], v22, s[6:7]
.LBB1_2:
	s_or_b32 exec_lo, exec_lo, s3
	s_waitcnt vmcnt(0)
	v_pk_mul_f16 v17, v1, v17
	v_pk_mul_f16 v13, v1, v13
	;; [unrolled: 1-line block ×4, first 2 shown]
	s_delay_alu instid0(VALU_DEP_4) | instskip(NEXT) | instid1(VALU_DEP_4)
	v_pk_fma_f16 v5, v18, v2, v17
	v_pk_fma_f16 v13, v14, v2, v13
	s_delay_alu instid0(VALU_DEP_4) | instskip(NEXT) | instid1(VALU_DEP_4)
	v_pk_fma_f16 v9, v10, v2, v9
	v_pk_fma_f16 v1, v6, v2, v1
	s_delay_alu instid0(VALU_DEP_4)
	v_pk_fma_f16 v2, v19, v3, v5
	v_mbcnt_lo_u32_b32 v5, -1, 0
	v_pk_fma_f16 v6, v15, v3, v13
	v_pk_fma_f16 v9, v11, v3, v9
	;; [unrolled: 1-line block ×4, first 2 shown]
	v_xor_b32_e32 v3, 16, v5
	v_pk_fma_f16 v6, v16, v4, v6
	v_pk_fma_f16 v7, v12, v4, v9
	;; [unrolled: 1-line block ×3, first 2 shown]
	v_cvt_f32_f16_e32 v4, v2
	v_lshrrev_b32_e32 v2, 16, v2
	v_cvt_f32_f16_e32 v8, v6
	v_lshrrev_b32_e32 v6, 16, v6
	;; [unrolled: 2-line block ×3, first 2 shown]
	v_lshrrev_b32_e32 v10, 16, v1
	v_cvt_f32_f16_e32 v2, v2
	v_cmp_gt_i32_e64 s2, 32, v3
	v_cvt_f32_f16_e32 v1, v1
	v_cvt_f32_f16_e32 v6, v6
	v_cvt_f32_f16_e32 v7, v7
	v_cvt_f32_f16_e32 v10, v10
	v_cndmask_b32_e64 v3, v5, v3, s2
	v_add_f32_e32 v2, v4, v2
	v_add_f32_e32 v4, v8, v6
	;; [unrolled: 1-line block ×4, first 2 shown]
	s_delay_alu instid0(VALU_DEP_4) | instskip(NEXT) | instid1(VALU_DEP_3)
	v_dual_cndmask_b32 v8, 0, v2 :: v_dual_lshlrev_b32 v1, 2, v3
	v_dual_cndmask_b32 v3, 0, v4 :: v_dual_cndmask_b32 v4, 0, v6
	s_delay_alu instid0(VALU_DEP_3)
	v_cndmask_b32_e32 v6, 0, v7, vcc_lo
	v_xor_b32_e32 v2, 8, v5
	ds_bpermute_b32 v7, v1, v8
	ds_bpermute_b32 v9, v1, v3
	s_mov_b32 s2, exec_lo
	v_cmp_gt_i32_e32 vcc_lo, 32, v2
	s_waitcnt lgkmcnt(1)
	v_add_f32_e32 v7, v8, v7
	ds_bpermute_b32 v10, v1, v4
	s_waitcnt lgkmcnt(1)
	v_add_f32_e32 v8, v3, v9
	v_xor_b32_e32 v3, 4, v5
	s_waitcnt lgkmcnt(0)
	v_add_f32_e32 v4, v4, v10
	v_cndmask_b32_e32 v2, v5, v2, vcc_lo
	s_delay_alu instid0(VALU_DEP_3) | instskip(NEXT) | instid1(VALU_DEP_2)
	v_cmp_gt_i32_e32 vcc_lo, 32, v3
	v_dual_cndmask_b32 v3, v5, v3 :: v_dual_lshlrev_b32 v2, 2, v2
	ds_bpermute_b32 v9, v2, v7
	ds_bpermute_b32 v10, v2, v8
	v_lshlrev_b32_e32 v3, 2, v3
	s_waitcnt lgkmcnt(1)
	v_add_f32_e32 v7, v7, v9
	ds_bpermute_b32 v11, v1, v6
	s_waitcnt lgkmcnt(1)
	v_add_f32_e32 v8, v8, v10
	ds_bpermute_b32 v10, v3, v7
	;; [unrolled: 3-line block ×5, first 2 shown]
	v_xor_b32_e32 v4, 2, v5
	s_waitcnt lgkmcnt(1)
	v_add_f32_e32 v6, v6, v12
	ds_bpermute_b32 v12, v3, v9
	v_cmp_gt_i32_e32 vcc_lo, 32, v4
	ds_bpermute_b32 v13, v3, v6
	v_cndmask_b32_e32 v4, v5, v4, vcc_lo
	s_waitcnt lgkmcnt(1)
	v_dual_add_f32 v8, v8, v11 :: v_dual_add_f32 v11, v9, v12
	s_waitcnt lgkmcnt(0)
	v_add_f32_e32 v12, v6, v13
	v_xor_b32_e32 v6, 1, v5
	s_delay_alu instid0(VALU_DEP_1)
	v_cmp_gt_i32_e32 vcc_lo, 32, v6
	v_dual_cndmask_b32 v5, v5, v6 :: v_dual_lshlrev_b32 v4, 2, v4
	ds_bpermute_b32 v9, v4, v7
	ds_bpermute_b32 v13, v4, v11
	;; [unrolled: 1-line block ×3, first 2 shown]
	v_lshlrev_b32_e32 v6, 2, v5
	v_lshrrev_b32_e32 v5, 5, v0
	s_waitcnt lgkmcnt(2)
	v_add_f32_e32 v9, v7, v9
	v_and_b32_e32 v7, 31, v0
	ds_bpermute_b32 v10, v4, v8
	s_waitcnt lgkmcnt(2)
	v_add_f32_e32 v11, v11, v13
	ds_bpermute_b32 v13, v6, v9
	ds_bpermute_b32 v15, v6, v11
	s_waitcnt lgkmcnt(2)
	v_add_f32_e32 v10, v8, v10
	v_add_f32_e32 v8, v12, v14
	ds_bpermute_b32 v14, v6, v10
	ds_bpermute_b32 v12, v6, v8
	v_cmpx_gt_u32_e32 4, v7
	s_cbranch_execz .LBB1_4
; %bb.3:
	s_waitcnt lgkmcnt(1)
	v_dual_add_f32 v9, v9, v13 :: v_dual_add_f32 v10, v10, v14
	v_cmp_eq_u32_e32 vcc_lo, 1, v7
	s_waitcnt lgkmcnt(0)
	v_dual_add_f32 v11, v11, v15 :: v_dual_add_f32 v8, v8, v12
	s_delay_alu instid0(VALU_DEP_3) | instskip(SKIP_1) | instid1(VALU_DEP_2)
	v_dual_cndmask_b32 v9, v9, v10 :: v_dual_lshlrev_b32 v10, 2, v5
	v_cmp_eq_u32_e32 vcc_lo, 2, v7
	v_lshl_or_b32 v10, v7, 7, v10
	s_delay_alu instid0(VALU_DEP_3) | instskip(SKIP_1) | instid1(VALU_DEP_2)
	v_cndmask_b32_e32 v9, v9, v11, vcc_lo
	v_cmp_eq_u32_e32 vcc_lo, 3, v7
	v_cndmask_b32_e32 v8, v9, v8, vcc_lo
	ds_store_b32 v10, v8
.LBB1_4:
	s_or_b32 exec_lo, exec_lo, s2
	s_waitcnt lgkmcnt(0)
	s_barrier
	buffer_gl0_inv
	s_mov_b32 s2, exec_lo
	v_cmpx_gt_u32_e32 64, v0
	s_cbranch_execz .LBB1_9
; %bb.5:
	s_load_b32 s0, s[0:1], 0x2c
	v_and_b32_e32 v8, 15, v0
	v_mov_b32_e32 v0, 0
	s_waitcnt lgkmcnt(0)
	s_and_b32 s0, 0xffff, s0
	s_delay_alu instid0(SALU_CYCLE_1) | instskip(NEXT) | instid1(SALU_CYCLE_1)
	s_lshr_b32 s0, s0, 5
	v_cmp_gt_u32_e32 vcc_lo, s0, v8
	s_and_saveexec_b32 s0, vcc_lo
	s_cbranch_execz .LBB1_7
; %bb.6:
	v_lshlrev_b32_e32 v0, 2, v8
	s_delay_alu instid0(VALU_DEP_1)
	v_and_or_b32 v0, 0x1f80, v21, v0
	ds_load_b32 v0, v0
.LBB1_7:
	s_or_b32 exec_lo, exec_lo, s0
	s_waitcnt lgkmcnt(0)
	ds_bpermute_b32 v2, v2, v0
	v_cmp_eq_u32_e32 vcc_lo, 0, v7
	s_waitcnt lgkmcnt(0)
	v_add_f32_e32 v0, v0, v2
	ds_bpermute_b32 v2, v3, v0
	s_waitcnt lgkmcnt(0)
	v_add_f32_e32 v0, v0, v2
	ds_bpermute_b32 v2, v4, v0
	;; [unrolled: 3-line block ×4, first 2 shown]
	s_and_b32 exec_lo, exec_lo, vcc_lo
	s_cbranch_execz .LBB1_9
; %bb.8:
	s_lshl_b32 s0, s15, 1
	v_mov_b32_e32 v3, 0
	v_and_or_b32 v2, 0x7ffffffe, s0, v5
	v_cvt_f16_f32_e32 v4, v0
	s_waitcnt lgkmcnt(0)
	v_cvt_f16_f32_e32 v5, v1
	s_delay_alu instid0(VALU_DEP_3) | instskip(NEXT) | instid1(VALU_DEP_2)
	v_lshlrev_b64 v[0:1], 2, v[2:3]
	v_pack_b32_f16 v2, v4, v5
	s_delay_alu instid0(VALU_DEP_2) | instskip(NEXT) | instid1(VALU_DEP_3)
	v_add_co_u32 v0, vcc_lo, s8, v0
	v_add_co_ci_u32_e32 v1, vcc_lo, s9, v1, vcc_lo
	global_store_b32 v[0:1], v2, off
.LBB1_9:
	s_nop 0
	s_sendmsg sendmsg(MSG_DEALLOC_VGPRS)
	s_endpgm
	.section	.rodata,"a",@progbits
	.p2align	6, 0x0
	.amdhsa_kernel _Z14LLGemm1_kernelIN3c104HalfELi4EEvPKT_S4_PS2_i
		.amdhsa_group_segment_fixed_size 512
		.amdhsa_private_segment_fixed_size 0
		.amdhsa_kernarg_size 288
		.amdhsa_user_sgpr_count 15
		.amdhsa_user_sgpr_dispatch_ptr 0
		.amdhsa_user_sgpr_queue_ptr 0
		.amdhsa_user_sgpr_kernarg_segment_ptr 1
		.amdhsa_user_sgpr_dispatch_id 0
		.amdhsa_user_sgpr_private_segment_size 0
		.amdhsa_wavefront_size32 1
		.amdhsa_uses_dynamic_stack 0
		.amdhsa_enable_private_segment 0
		.amdhsa_system_sgpr_workgroup_id_x 1
		.amdhsa_system_sgpr_workgroup_id_y 0
		.amdhsa_system_sgpr_workgroup_id_z 0
		.amdhsa_system_sgpr_workgroup_info 0
		.amdhsa_system_vgpr_workitem_id 0
		.amdhsa_next_free_vgpr 23
		.amdhsa_next_free_sgpr 16
		.amdhsa_reserve_vcc 1
		.amdhsa_float_round_mode_32 0
		.amdhsa_float_round_mode_16_64 0
		.amdhsa_float_denorm_mode_32 3
		.amdhsa_float_denorm_mode_16_64 3
		.amdhsa_dx10_clamp 1
		.amdhsa_ieee_mode 1
		.amdhsa_fp16_overflow 0
		.amdhsa_workgroup_processor_mode 1
		.amdhsa_memory_ordered 1
		.amdhsa_forward_progress 0
		.amdhsa_shared_vgpr_count 0
		.amdhsa_exception_fp_ieee_invalid_op 0
		.amdhsa_exception_fp_denorm_src 0
		.amdhsa_exception_fp_ieee_div_zero 0
		.amdhsa_exception_fp_ieee_overflow 0
		.amdhsa_exception_fp_ieee_underflow 0
		.amdhsa_exception_fp_ieee_inexact 0
		.amdhsa_exception_int_div_zero 0
	.end_amdhsa_kernel
	.section	.text._Z14LLGemm1_kernelIN3c104HalfELi4EEvPKT_S4_PS2_i,"axG",@progbits,_Z14LLGemm1_kernelIN3c104HalfELi4EEvPKT_S4_PS2_i,comdat
.Lfunc_end1:
	.size	_Z14LLGemm1_kernelIN3c104HalfELi4EEvPKT_S4_PS2_i, .Lfunc_end1-_Z14LLGemm1_kernelIN3c104HalfELi4EEvPKT_S4_PS2_i
                                        ; -- End function
	.section	.AMDGPU.csdata,"",@progbits
; Kernel info:
; codeLenInByte = 1256
; NumSgprs: 18
; NumVgprs: 23
; ScratchSize: 0
; MemoryBound: 0
; FloatMode: 240
; IeeeMode: 1
; LDSByteSize: 512 bytes/workgroup (compile time only)
; SGPRBlocks: 2
; VGPRBlocks: 2
; NumSGPRsForWavesPerEU: 18
; NumVGPRsForWavesPerEU: 23
; Occupancy: 16
; WaveLimiterHint : 0
; COMPUTE_PGM_RSRC2:SCRATCH_EN: 0
; COMPUTE_PGM_RSRC2:USER_SGPR: 15
; COMPUTE_PGM_RSRC2:TRAP_HANDLER: 0
; COMPUTE_PGM_RSRC2:TGID_X_EN: 1
; COMPUTE_PGM_RSRC2:TGID_Y_EN: 0
; COMPUTE_PGM_RSRC2:TGID_Z_EN: 0
; COMPUTE_PGM_RSRC2:TIDIG_COMP_CNT: 0
	.section	.text._Z14LLGemm1_kernelIN3c104HalfELi8EEvPKT_S4_PS2_i,"axG",@progbits,_Z14LLGemm1_kernelIN3c104HalfELi8EEvPKT_S4_PS2_i,comdat
	.protected	_Z14LLGemm1_kernelIN3c104HalfELi8EEvPKT_S4_PS2_i ; -- Begin function _Z14LLGemm1_kernelIN3c104HalfELi8EEvPKT_S4_PS2_i
	.globl	_Z14LLGemm1_kernelIN3c104HalfELi8EEvPKT_S4_PS2_i
	.p2align	8
	.type	_Z14LLGemm1_kernelIN3c104HalfELi8EEvPKT_S4_PS2_i,@function
_Z14LLGemm1_kernelIN3c104HalfELi8EEvPKT_S4_PS2_i: ; @_Z14LLGemm1_kernelIN3c104HalfELi8EEvPKT_S4_PS2_i
; %bb.0:
	s_clause 0x2
	s_load_b32 s2, s[0:1], 0x18
	s_load_b128 s[4:7], s[0:1], 0x0
	s_load_b64 s[8:9], s[0:1], 0x10
	v_lshlrev_b32_e32 v37, 3, v0
                                        ; implicit-def: $vgpr4
                                        ; implicit-def: $vgpr5
                                        ; implicit-def: $vgpr9
                                        ; implicit-def: $vgpr17
                                        ; implicit-def: $vgpr21
                                        ; implicit-def: $vgpr13
                                        ; implicit-def: $vgpr25
                                        ; implicit-def: $vgpr29
                                        ; implicit-def: $vgpr33
	s_waitcnt lgkmcnt(0)
	s_delay_alu instid0(VALU_DEP_1)
	v_cmp_gt_i32_e32 vcc_lo, s2, v37
	s_and_saveexec_b32 s3, vcc_lo
	s_cbranch_execz .LBB2_2
; %bb.1:
	s_mul_i32 s10, s15, s2
	s_mov_b32 s11, 0
	s_and_b32 s10, s10, 0x1fffffff
	s_delay_alu instid0(SALU_CYCLE_1) | instskip(SKIP_3) | instid1(VALU_DEP_2)
	v_dual_mov_b32 v2, 0 :: v_dual_add_nc_u32 v1, s10, v0
	s_lshr_b32 s10, s2, 3
	v_lshlrev_b32_e32 v38, 4, v0
	s_lshl_b64 s[12:13], s[10:11], 4
	v_lshlrev_b64 v[3:4], 4, v[1:2]
	v_add3_u32 v1, s10, s10, v1
	s_delay_alu instid0(VALU_DEP_1) | instskip(SKIP_1) | instid1(VALU_DEP_4)
	v_lshlrev_b64 v[5:6], 4, v[1:2]
	v_add_nc_u32_e32 v1, s10, v1
	v_add_co_u32 v3, s2, s4, v3
	s_delay_alu instid0(VALU_DEP_1) | instskip(NEXT) | instid1(VALU_DEP_3)
	v_add_co_ci_u32_e64 v4, s2, s5, v4, s2
	v_lshlrev_b64 v[7:8], 4, v[1:2]
	s_delay_alu instid0(VALU_DEP_3) | instskip(SKIP_1) | instid1(VALU_DEP_4)
	v_add_co_u32 v9, s2, v3, s12
	v_add_nc_u32_e32 v1, s10, v1
	v_add_co_ci_u32_e64 v10, s2, s13, v4, s2
	v_add_co_u32 v5, s2, s4, v5
	s_delay_alu instid0(VALU_DEP_1) | instskip(NEXT) | instid1(VALU_DEP_4)
	v_add_co_ci_u32_e64 v6, s2, s5, v6, s2
	v_lshlrev_b64 v[11:12], 4, v[1:2]
	v_add_nc_u32_e32 v1, s10, v1
	v_add_co_u32 v7, s2, s4, v7
	s_delay_alu instid0(VALU_DEP_1)
	v_add_co_ci_u32_e64 v8, s2, s5, v8, s2
	s_clause 0x3
	global_load_b128 v[33:36], v[3:4], off slc dlc
	global_load_b128 v[29:32], v[9:10], off slc dlc
	;; [unrolled: 1-line block ×4, first 2 shown]
	v_lshlrev_b64 v[3:4], 4, v[1:2]
	v_add_nc_u32_e32 v1, s10, v1
	v_add_co_u32 v5, s2, s4, v11
	s_delay_alu instid0(VALU_DEP_1) | instskip(NEXT) | instid1(VALU_DEP_3)
	v_add_co_ci_u32_e64 v6, s2, s5, v12, s2
	v_lshlrev_b64 v[7:8], 4, v[1:2]
	v_add_nc_u32_e32 v1, s10, v1
	v_add_co_u32 v3, s2, s4, v3
	s_delay_alu instid0(VALU_DEP_1) | instskip(NEXT) | instid1(VALU_DEP_3)
	v_add_co_ci_u32_e64 v4, s2, s5, v4, s2
	v_lshlrev_b64 v[1:2], 4, v[1:2]
	v_add_co_u32 v7, s2, s4, v7
	s_delay_alu instid0(VALU_DEP_1) | instskip(NEXT) | instid1(VALU_DEP_3)
	v_add_co_ci_u32_e64 v8, s2, s5, v8, s2
	v_add_co_u32 v1, s2, s4, v1
	s_delay_alu instid0(VALU_DEP_1)
	v_add_co_ci_u32_e64 v2, s2, s5, v2, s2
	s_clause 0x3
	global_load_b128 v[21:24], v[5:6], off slc dlc
	global_load_b128 v[17:20], v[3:4], off slc dlc
	;; [unrolled: 1-line block ×4, first 2 shown]
	global_load_b128 v[1:4], v38, s[6:7]
.LBB2_2:
	s_or_b32 exec_lo, exec_lo, s3
	s_waitcnt vmcnt(0)
	v_pk_mul_f16 v33, v1, v33
	v_pk_mul_f16 v29, v1, v29
	;; [unrolled: 1-line block ×5, first 2 shown]
	v_pk_fma_f16 v33, v34, v2, v33
	v_pk_fma_f16 v29, v30, v2, v29
	;; [unrolled: 1-line block ×4, first 2 shown]
	v_pk_mul_f16 v9, v1, v9
	v_pk_fma_f16 v26, v35, v3, v33
	v_pk_fma_f16 v29, v31, v3, v29
	;; [unrolled: 1-line block ×5, first 2 shown]
	v_pk_mul_f16 v21, v1, v21
	v_pk_fma_f16 v14, v36, v4, v26
	v_pk_fma_f16 v26, v32, v4, v29
	;; [unrolled: 1-line block ×4, first 2 shown]
	v_pk_mul_f16 v1, v1, v5
	v_pk_fma_f16 v9, v10, v2, v9
	v_pk_fma_f16 v10, v19, v3, v17
	v_cvt_f32_f16_e32 v15, v14
	v_lshrrev_b32_e32 v14, 16, v14
	v_lshrrev_b32_e32 v27, 16, v26
	;; [unrolled: 1-line block ×3, first 2 shown]
	v_pk_fma_f16 v16, v22, v2, v21
	v_lshrrev_b32_e32 v22, 16, v13
	v_pk_fma_f16 v1, v6, v2, v1
	v_pk_fma_f16 v6, v11, v3, v9
	;; [unrolled: 1-line block ×3, first 2 shown]
	v_cvt_f32_f16_e32 v26, v26
	v_cvt_f32_f16_e32 v25, v25
	;; [unrolled: 1-line block ×7, first 2 shown]
	v_pk_fma_f16 v16, v23, v3, v16
	v_pk_fma_f16 v1, v7, v3, v1
	v_lshrrev_b32_e32 v7, 16, v9
	v_dual_add_f32 v14, v15, v14 :: v_dual_add_f32 v15, v26, v27
	v_add_f32_e32 v21, v25, v28
	v_add_f32_e32 v5, v13, v22
	v_pk_fma_f16 v13, v24, v4, v16
	v_pk_fma_f16 v6, v12, v4, v6
	;; [unrolled: 1-line block ×3, first 2 shown]
	v_cvt_f32_f16_e32 v4, v9
	v_cvt_f32_f16_e32 v7, v7
	v_dual_cndmask_b32 v14, 0, v14 :: v_dual_cndmask_b32 v21, 0, v21
	v_mbcnt_lo_u32_b32 v8, -1, 0
	v_lshrrev_b32_e32 v9, 16, v6
	s_delay_alu instid0(VALU_DEP_4)
	v_add_f32_e32 v4, v4, v7
	v_lshrrev_b32_e32 v10, 16, v1
	v_cvt_f32_f16_e32 v3, v13
	v_xor_b32_e32 v11, 16, v8
	v_cvt_f32_f16_e32 v6, v6
	v_dual_cndmask_b32 v4, 0, v4 :: v_dual_cndmask_b32 v15, 0, v15
	v_cndmask_b32_e32 v2, 0, v5, vcc_lo
	v_lshrrev_b32_e32 v5, 16, v13
	v_cvt_f32_f16_e32 v9, v9
	v_cvt_f32_f16_e32 v1, v1
	;; [unrolled: 1-line block ×3, first 2 shown]
	v_cmp_gt_i32_e64 s2, 32, v11
	v_cvt_f32_f16_e32 v5, v5
	v_xor_b32_e32 v18, 8, v8
	v_xor_b32_e32 v20, 4, v8
	s_delay_alu instid0(VALU_DEP_4) | instskip(NEXT) | instid1(VALU_DEP_4)
	v_cndmask_b32_e64 v11, v8, v11, s2
	v_add_f32_e32 v3, v3, v5
	v_dual_add_f32 v5, v6, v9 :: v_dual_add_f32 v6, v1, v10
	s_mov_b32 s2, exec_lo
	s_delay_alu instid0(VALU_DEP_1) | instskip(NEXT) | instid1(VALU_DEP_2)
	v_dual_cndmask_b32 v3, 0, v3 :: v_dual_cndmask_b32 v6, 0, v6
	v_cndmask_b32_e32 v5, 0, v5, vcc_lo
	v_cmp_gt_i32_e32 vcc_lo, 32, v18
	v_dual_cndmask_b32 v18, v8, v18 :: v_dual_lshlrev_b32 v1, 2, v11
	ds_bpermute_b32 v10, v1, v21
	ds_bpermute_b32 v11, v1, v2
	;; [unrolled: 1-line block ×6, first 2 shown]
	v_cmp_gt_i32_e32 vcc_lo, 32, v20
	v_cndmask_b32_e32 v20, v8, v20, vcc_lo
	s_waitcnt lgkmcnt(5)
	v_add_f32_e32 v10, v21, v10
	ds_bpermute_b32 v12, v1, v3
	s_waitcnt lgkmcnt(5)
	v_dual_add_f32 v11, v2, v11 :: v_dual_lshlrev_b32 v2, 2, v18
	s_waitcnt lgkmcnt(2)
	v_add_f32_e32 v4, v4, v13
	ds_bpermute_b32 v16, v1, v5
	v_add_f32_e32 v7, v14, v7
	v_add_f32_e32 v9, v15, v9
	s_waitcnt lgkmcnt(2)
	v_add_f32_e32 v6, v6, v17
	ds_bpermute_b32 v14, v2, v10
	ds_bpermute_b32 v15, v2, v11
	;; [unrolled: 1-line block ×5, first 2 shown]
	v_xor_b32_e32 v21, 2, v8
	s_delay_alu instid0(VALU_DEP_1)
	v_cmp_gt_i32_e32 vcc_lo, 32, v21
	s_waitcnt lgkmcnt(6)
	v_add_f32_e32 v12, v3, v12
	ds_bpermute_b32 v3, v2, v7
	s_waitcnt lgkmcnt(6)
	v_add_f32_e32 v5, v5, v16
	ds_bpermute_b32 v16, v2, v12
	;; [unrolled: 3-line block ×3, first 2 shown]
	s_waitcnt lgkmcnt(3)
	v_dual_add_f32 v9, v9, v13 :: v_dual_add_f32 v6, v6, v19
	s_waitcnt lgkmcnt(2)
	v_add_f32_e32 v7, v7, v3
	v_lshlrev_b32_e32 v3, 2, v20
	s_waitcnt lgkmcnt(1)
	v_add_f32_e32 v12, v12, v16
	ds_bpermute_b32 v14, v3, v9
	ds_bpermute_b32 v20, v3, v6
	s_waitcnt lgkmcnt(1)
	v_add_f32_e32 v9, v9, v14
	v_cndmask_b32_e32 v21, v8, v21, vcc_lo
	v_add_f32_e32 v11, v11, v15
	ds_bpermute_b32 v15, v3, v10
	v_add_f32_e32 v13, v4, v17
	ds_bpermute_b32 v17, v3, v12
	ds_bpermute_b32 v4, v3, v7
	s_waitcnt lgkmcnt(2)
	v_dual_add_f32 v5, v5, v18 :: v_dual_add_f32 v10, v10, v15
	ds_bpermute_b32 v18, v3, v13
	s_waitcnt lgkmcnt(2)
	v_add_f32_e32 v14, v12, v17
	v_xor_b32_e32 v17, 1, v8
	v_add_f32_e32 v15, v6, v20
	ds_bpermute_b32 v19, v3, v5
	v_cmp_gt_i32_e32 vcc_lo, 32, v17
	s_waitcnt lgkmcnt(2)
	v_dual_add_f32 v7, v7, v4 :: v_dual_lshlrev_b32 v4, 2, v21
	ds_bpermute_b32 v16, v3, v11
	v_cndmask_b32_e32 v8, v8, v17, vcc_lo
	ds_bpermute_b32 v6, v4, v7
	ds_bpermute_b32 v24, v4, v15
	ds_bpermute_b32 v12, v4, v9
	ds_bpermute_b32 v21, v4, v14
	s_waitcnt lgkmcnt(6)
	v_add_f32_e32 v13, v13, v18
	s_waitcnt lgkmcnt(5)
	v_add_f32_e32 v5, v5, v19
	s_waitcnt lgkmcnt(3)
	v_dual_add_f32 v17, v7, v6 :: v_dual_lshlrev_b32 v6, 2, v8
	s_waitcnt lgkmcnt(2)
	v_add_f32_e32 v8, v15, v24
	ds_bpermute_b32 v22, v4, v13
	v_add_f32_e32 v11, v11, v16
	ds_bpermute_b32 v16, v4, v10
	ds_bpermute_b32 v23, v4, v5
	s_waitcnt lgkmcnt(4)
	v_add_f32_e32 v18, v9, v12
	v_and_b32_e32 v7, 31, v0
	s_waitcnt lgkmcnt(1)
	v_dual_add_f32 v19, v10, v16 :: v_dual_add_f32 v10, v13, v22
	ds_bpermute_b32 v20, v4, v11
	s_waitcnt lgkmcnt(1)
	v_add_f32_e32 v9, v5, v23
	ds_bpermute_b32 v22, v6, v18
	ds_bpermute_b32 v23, v6, v19
	;; [unrolled: 1-line block ×4, first 2 shown]
	v_lshrrev_b32_e32 v5, 5, v0
	s_waitcnt lgkmcnt(4)
	v_dual_add_f32 v12, v11, v20 :: v_dual_add_f32 v11, v14, v21
	ds_bpermute_b32 v21, v6, v17
	ds_bpermute_b32 v14, v6, v9
	;; [unrolled: 1-line block ×4, first 2 shown]
	v_cmpx_gt_u32_e32 8, v7
	s_cbranch_execz .LBB2_4
; %bb.3:
	s_waitcnt lgkmcnt(3)
	v_dual_add_f32 v17, v17, v21 :: v_dual_add_f32 v18, v18, v22
	v_cmp_eq_u32_e32 vcc_lo, 1, v7
	s_waitcnt lgkmcnt(1)
	v_dual_add_f32 v19, v19, v23 :: v_dual_add_f32 v12, v12, v20
	s_waitcnt lgkmcnt(0)
	v_dual_add_f32 v10, v10, v15 :: v_dual_add_f32 v11, v11, v16
	v_dual_add_f32 v8, v8, v13 :: v_dual_cndmask_b32 v17, v17, v18
	v_cmp_eq_u32_e32 vcc_lo, 2, v7
	v_add_f32_e32 v9, v9, v14
	s_delay_alu instid0(VALU_DEP_3) | instskip(SKIP_1) | instid1(VALU_DEP_2)
	v_cndmask_b32_e32 v17, v17, v19, vcc_lo
	v_cmp_eq_u32_e32 vcc_lo, 3, v7
	v_cndmask_b32_e32 v12, v17, v12, vcc_lo
	v_cmp_eq_u32_e32 vcc_lo, 4, v7
	s_delay_alu instid0(VALU_DEP_2) | instskip(SKIP_1) | instid1(VALU_DEP_2)
	v_cndmask_b32_e32 v11, v12, v11, vcc_lo
	v_cmp_eq_u32_e32 vcc_lo, 5, v7
	v_cndmask_b32_e32 v10, v11, v10, vcc_lo
	v_cmp_eq_u32_e32 vcc_lo, 6, v7
	v_lshlrev_b32_e32 v11, 2, v5
	s_delay_alu instid0(VALU_DEP_3) | instskip(SKIP_1) | instid1(VALU_DEP_3)
	v_cndmask_b32_e32 v9, v10, v9, vcc_lo
	v_cmp_eq_u32_e32 vcc_lo, 7, v7
	v_lshl_or_b32 v10, v7, 7, v11
	s_delay_alu instid0(VALU_DEP_3)
	v_cndmask_b32_e32 v8, v9, v8, vcc_lo
	ds_store_b32 v10, v8
.LBB2_4:
	s_or_b32 exec_lo, exec_lo, s2
	s_waitcnt lgkmcnt(0)
	s_barrier
	buffer_gl0_inv
	s_mov_b32 s2, exec_lo
	v_cmpx_gt_u32_e32 0x80, v0
	s_cbranch_execz .LBB2_9
; %bb.5:
	s_load_b32 s0, s[0:1], 0x2c
	v_and_b32_e32 v8, 15, v0
	v_mov_b32_e32 v0, 0
	s_waitcnt lgkmcnt(0)
	s_and_b32 s0, 0xffff, s0
	s_delay_alu instid0(SALU_CYCLE_1) | instskip(NEXT) | instid1(SALU_CYCLE_1)
	s_lshr_b32 s0, s0, 5
	v_cmp_gt_u32_e32 vcc_lo, s0, v8
	s_and_saveexec_b32 s0, vcc_lo
	s_cbranch_execz .LBB2_7
; %bb.6:
	v_lshlrev_b32_e32 v0, 2, v8
	s_delay_alu instid0(VALU_DEP_1)
	v_and_or_b32 v0, 0x1f80, v37, v0
	ds_load_b32 v0, v0
.LBB2_7:
	s_or_b32 exec_lo, exec_lo, s0
	s_waitcnt lgkmcnt(0)
	ds_bpermute_b32 v2, v2, v0
	v_cmp_eq_u32_e32 vcc_lo, 0, v7
	s_waitcnt lgkmcnt(0)
	v_add_f32_e32 v0, v0, v2
	ds_bpermute_b32 v2, v3, v0
	s_waitcnt lgkmcnt(0)
	v_add_f32_e32 v0, v0, v2
	ds_bpermute_b32 v2, v4, v0
	;; [unrolled: 3-line block ×4, first 2 shown]
	s_and_b32 exec_lo, exec_lo, vcc_lo
	s_cbranch_execz .LBB2_9
; %bb.8:
	s_lshl_b32 s0, s15, 2
	v_mov_b32_e32 v3, 0
	v_and_or_b32 v2, 0x7ffffffc, s0, v5
	v_cvt_f16_f32_e32 v4, v0
	s_waitcnt lgkmcnt(0)
	v_cvt_f16_f32_e32 v5, v1
	s_delay_alu instid0(VALU_DEP_3) | instskip(NEXT) | instid1(VALU_DEP_2)
	v_lshlrev_b64 v[0:1], 2, v[2:3]
	v_pack_b32_f16 v2, v4, v5
	s_delay_alu instid0(VALU_DEP_2) | instskip(NEXT) | instid1(VALU_DEP_3)
	v_add_co_u32 v0, vcc_lo, s8, v0
	v_add_co_ci_u32_e32 v1, vcc_lo, s9, v1, vcc_lo
	global_store_b32 v[0:1], v2, off
.LBB2_9:
	s_nop 0
	s_sendmsg sendmsg(MSG_DEALLOC_VGPRS)
	s_endpgm
	.section	.rodata,"a",@progbits
	.p2align	6, 0x0
	.amdhsa_kernel _Z14LLGemm1_kernelIN3c104HalfELi8EEvPKT_S4_PS2_i
		.amdhsa_group_segment_fixed_size 1024
		.amdhsa_private_segment_fixed_size 0
		.amdhsa_kernarg_size 288
		.amdhsa_user_sgpr_count 15
		.amdhsa_user_sgpr_dispatch_ptr 0
		.amdhsa_user_sgpr_queue_ptr 0
		.amdhsa_user_sgpr_kernarg_segment_ptr 1
		.amdhsa_user_sgpr_dispatch_id 0
		.amdhsa_user_sgpr_private_segment_size 0
		.amdhsa_wavefront_size32 1
		.amdhsa_uses_dynamic_stack 0
		.amdhsa_enable_private_segment 0
		.amdhsa_system_sgpr_workgroup_id_x 1
		.amdhsa_system_sgpr_workgroup_id_y 0
		.amdhsa_system_sgpr_workgroup_id_z 0
		.amdhsa_system_sgpr_workgroup_info 0
		.amdhsa_system_vgpr_workitem_id 0
		.amdhsa_next_free_vgpr 39
		.amdhsa_next_free_sgpr 16
		.amdhsa_reserve_vcc 1
		.amdhsa_float_round_mode_32 0
		.amdhsa_float_round_mode_16_64 0
		.amdhsa_float_denorm_mode_32 3
		.amdhsa_float_denorm_mode_16_64 3
		.amdhsa_dx10_clamp 1
		.amdhsa_ieee_mode 1
		.amdhsa_fp16_overflow 0
		.amdhsa_workgroup_processor_mode 1
		.amdhsa_memory_ordered 1
		.amdhsa_forward_progress 0
		.amdhsa_shared_vgpr_count 0
		.amdhsa_exception_fp_ieee_invalid_op 0
		.amdhsa_exception_fp_denorm_src 0
		.amdhsa_exception_fp_ieee_div_zero 0
		.amdhsa_exception_fp_ieee_overflow 0
		.amdhsa_exception_fp_ieee_underflow 0
		.amdhsa_exception_fp_ieee_inexact 0
		.amdhsa_exception_int_div_zero 0
	.end_amdhsa_kernel
	.section	.text._Z14LLGemm1_kernelIN3c104HalfELi8EEvPKT_S4_PS2_i,"axG",@progbits,_Z14LLGemm1_kernelIN3c104HalfELi8EEvPKT_S4_PS2_i,comdat
.Lfunc_end2:
	.size	_Z14LLGemm1_kernelIN3c104HalfELi8EEvPKT_S4_PS2_i, .Lfunc_end2-_Z14LLGemm1_kernelIN3c104HalfELi8EEvPKT_S4_PS2_i
                                        ; -- End function
	.section	.AMDGPU.csdata,"",@progbits
; Kernel info:
; codeLenInByte = 1940
; NumSgprs: 18
; NumVgprs: 39
; ScratchSize: 0
; MemoryBound: 0
; FloatMode: 240
; IeeeMode: 1
; LDSByteSize: 1024 bytes/workgroup (compile time only)
; SGPRBlocks: 2
; VGPRBlocks: 4
; NumSGPRsForWavesPerEU: 18
; NumVGPRsForWavesPerEU: 39
; Occupancy: 16
; WaveLimiterHint : 0
; COMPUTE_PGM_RSRC2:SCRATCH_EN: 0
; COMPUTE_PGM_RSRC2:USER_SGPR: 15
; COMPUTE_PGM_RSRC2:TRAP_HANDLER: 0
; COMPUTE_PGM_RSRC2:TGID_X_EN: 1
; COMPUTE_PGM_RSRC2:TGID_Y_EN: 0
; COMPUTE_PGM_RSRC2:TGID_Z_EN: 0
; COMPUTE_PGM_RSRC2:TIDIG_COMP_CNT: 0
	.section	.text._Z14LLGemm1_kernelIN3c104HalfELi16EEvPKT_S4_PS2_i,"axG",@progbits,_Z14LLGemm1_kernelIN3c104HalfELi16EEvPKT_S4_PS2_i,comdat
	.protected	_Z14LLGemm1_kernelIN3c104HalfELi16EEvPKT_S4_PS2_i ; -- Begin function _Z14LLGemm1_kernelIN3c104HalfELi16EEvPKT_S4_PS2_i
	.globl	_Z14LLGemm1_kernelIN3c104HalfELi16EEvPKT_S4_PS2_i
	.p2align	8
	.type	_Z14LLGemm1_kernelIN3c104HalfELi16EEvPKT_S4_PS2_i,@function
_Z14LLGemm1_kernelIN3c104HalfELi16EEvPKT_S4_PS2_i: ; @_Z14LLGemm1_kernelIN3c104HalfELi16EEvPKT_S4_PS2_i
; %bb.0:
	s_clause 0x2
	s_load_b32 s12, s[0:1], 0x18
	s_load_b128 s[4:7], s[0:1], 0x0
	s_load_b64 s[8:9], s[0:1], 0x10
	v_lshlrev_b32_e32 v69, 3, v0
                                        ; implicit-def: $vgpr4
                                        ; implicit-def: $vgpr5
                                        ; implicit-def: $vgpr9
                                        ; implicit-def: $vgpr13
                                        ; implicit-def: $vgpr21
                                        ; implicit-def: $vgpr17
                                        ; implicit-def: $vgpr29
                                        ; implicit-def: $vgpr41
                                        ; implicit-def: $vgpr53
                                        ; implicit-def: $vgpr25
                                        ; implicit-def: $vgpr37
                                        ; implicit-def: $vgpr61
                                        ; implicit-def: $vgpr65
                                        ; implicit-def: $vgpr33
                                        ; implicit-def: $vgpr45
                                        ; implicit-def: $vgpr49
                                        ; implicit-def: $vgpr57
	s_waitcnt lgkmcnt(0)
	s_delay_alu instid0(VALU_DEP_1)
	v_cmp_gt_i32_e32 vcc_lo, s12, v69
	s_and_saveexec_b32 s3, vcc_lo
	s_cbranch_execz .LBB3_2
; %bb.1:
	s_mul_i32 s2, s15, s12
	s_lshr_b32 s10, s12, 3
	s_lshl_b32 s2, s2, 1
	s_mov_b32 s11, 0
	s_and_b32 s2, s2, 0x1ffffffe
	s_delay_alu instid0(SALU_CYCLE_1) | instskip(SKIP_3) | instid1(VALU_DEP_2)
	v_dual_mov_b32 v2, 0 :: v_dual_add_nc_u32 v1, s2, v0
	s_lshl_b64 s[16:17], s[10:11], 4
	s_and_b32 s11, s12, -8
	v_lshlrev_b32_e32 v70, 4, v0
	v_lshlrev_b64 v[5:6], 4, v[1:2]
	v_add3_u32 v3, s10, s10, v1
	v_dual_mov_b32 v4, v2 :: v_dual_add_nc_u32 v1, s11, v1
	s_delay_alu instid0(VALU_DEP_2) | instskip(NEXT) | instid1(VALU_DEP_2)
	v_dual_mov_b32 v8, v2 :: v_dual_add_nc_u32 v7, s10, v3
	v_lshlrev_b64 v[9:10], 4, v[3:4]
	v_add_co_u32 v3, s2, s4, v5
	s_delay_alu instid0(VALU_DEP_3) | instskip(SKIP_2) | instid1(VALU_DEP_4)
	v_add_nc_u32_e32 v13, s10, v7
	v_add_co_ci_u32_e64 v4, s2, s5, v6, s2
	v_lshlrev_b64 v[5:6], 4, v[7:8]
	v_add_co_u32 v11, s2, v3, s16
	s_delay_alu instid0(VALU_DEP_1) | instskip(SKIP_1) | instid1(VALU_DEP_1)
	v_add_co_ci_u32_e64 v12, s2, s17, v4, s2
	v_add_co_u32 v8, s2, s4, v9
	v_add_co_ci_u32_e64 v9, s2, s5, v10, s2
	v_dual_mov_b32 v14, v2 :: v_dual_add_nc_u32 v15, s10, v13
	v_add_co_u32 v5, s2, s4, v5
	s_delay_alu instid0(VALU_DEP_1) | instskip(NEXT) | instid1(VALU_DEP_3)
	v_add_co_ci_u32_e64 v6, s2, s5, v6, s2
	v_dual_mov_b32 v16, v2 :: v_dual_add_nc_u32 v7, s10, v15
	s_clause 0x1
	global_load_b128 v[57:60], v[3:4], off slc dlc
	global_load_b128 v[49:52], v[11:12], off slc dlc
	v_lshlrev_b64 v[3:4], 4, v[13:14]
	s_clause 0x1
	global_load_b128 v[45:48], v[8:9], off slc dlc
	global_load_b128 v[33:36], v[5:6], off slc dlc
	v_mov_b32_e32 v8, v2
	v_lshlrev_b64 v[5:6], 4, v[15:16]
	v_dual_mov_b32 v11, v2 :: v_dual_add_nc_u32 v10, s10, v7
	v_add_co_u32 v3, s2, s4, v3
	s_delay_alu instid0(VALU_DEP_4)
	v_lshlrev_b64 v[8:9], 4, v[7:8]
	v_add_co_ci_u32_e64 v4, s2, s5, v4, s2
	v_add_co_u32 v5, s2, s4, v5
	v_lshlrev_b64 v[11:12], 4, v[10:11]
	v_add_co_ci_u32_e64 v6, s2, s5, v6, s2
	v_add_co_u32 v7, s2, s4, v8
	s_delay_alu instid0(VALU_DEP_1) | instskip(SKIP_3) | instid1(VALU_DEP_1)
	v_add_co_ci_u32_e64 v8, s2, s5, v9, s2
	v_lshlrev_b64 v[13:14], 4, v[1:2]
	v_lshl_add_u32 v1, s10, 1, v10
	v_add_co_u32 v11, s2, s4, v11
	v_add_co_ci_u32_e64 v12, s2, s5, v12, s2
	s_clause 0x3
	global_load_b128 v[65:68], v[3:4], off slc dlc
	global_load_b128 v[61:64], v[5:6], off slc dlc
	;; [unrolled: 1-line block ×4, first 2 shown]
	v_lshlrev_b64 v[3:4], 4, v[1:2]
	v_add_nc_u32_e32 v1, s10, v1
	v_add_co_u32 v5, s2, s4, v13
	s_delay_alu instid0(VALU_DEP_1) | instskip(NEXT) | instid1(VALU_DEP_3)
	v_add_co_ci_u32_e64 v6, s2, s5, v14, s2
	v_lshlrev_b64 v[7:8], 4, v[1:2]
	v_add_nc_u32_e32 v1, s10, v1
	v_add_co_u32 v3, s2, s4, v3
	s_delay_alu instid0(VALU_DEP_1) | instskip(NEXT) | instid1(VALU_DEP_3)
	v_add_co_ci_u32_e64 v4, s2, s5, v4, s2
	;; [unrolled: 5-line block ×3, first 2 shown]
	v_lshlrev_b64 v[11:12], 4, v[1:2]
	v_add_nc_u32_e32 v1, s10, v1
	v_add_co_u32 v9, s2, s4, v9
	s_delay_alu instid0(VALU_DEP_1)
	v_add_co_ci_u32_e64 v10, s2, s5, v10, s2
	s_clause 0x3
	global_load_b128 v[53:56], v[5:6], off slc dlc
	global_load_b128 v[41:44], v[3:4], off slc dlc
	;; [unrolled: 1-line block ×4, first 2 shown]
	v_lshlrev_b64 v[3:4], 4, v[1:2]
	v_add_nc_u32_e32 v1, s10, v1
	v_add_co_u32 v5, s2, s4, v11
	s_delay_alu instid0(VALU_DEP_1) | instskip(NEXT) | instid1(VALU_DEP_3)
	v_add_co_ci_u32_e64 v6, s2, s5, v12, s2
	v_lshlrev_b64 v[7:8], 4, v[1:2]
	v_add_nc_u32_e32 v1, s10, v1
	v_add_co_u32 v3, s2, s4, v3
	s_delay_alu instid0(VALU_DEP_1) | instskip(NEXT) | instid1(VALU_DEP_3)
	v_add_co_ci_u32_e64 v4, s2, s5, v4, s2
	v_lshlrev_b64 v[1:2], 4, v[1:2]
	v_add_co_u32 v7, s2, s4, v7
	s_delay_alu instid0(VALU_DEP_1) | instskip(NEXT) | instid1(VALU_DEP_3)
	v_add_co_ci_u32_e64 v8, s2, s5, v8, s2
	v_add_co_u32 v1, s2, s4, v1
	s_delay_alu instid0(VALU_DEP_1)
	v_add_co_ci_u32_e64 v2, s2, s5, v2, s2
	s_clause 0x3
	global_load_b128 v[21:24], v[5:6], off slc dlc
	global_load_b128 v[13:16], v[3:4], off slc dlc
	;; [unrolled: 1-line block ×4, first 2 shown]
	global_load_b128 v[1:4], v70, s[6:7]
.LBB3_2:
	s_or_b32 exec_lo, exec_lo, s3
	s_waitcnt vmcnt(0)
	v_pk_mul_f16 v45, v1, v45
	v_pk_mul_f16 v57, v1, v57
	;; [unrolled: 1-line block ×5, first 2 shown]
	v_pk_fma_f16 v45, v46, v2, v45
	v_pk_fma_f16 v57, v58, v2, v57
	;; [unrolled: 1-line block ×3, first 2 shown]
	v_pk_mul_f16 v50, v1, v65
	v_pk_fma_f16 v33, v34, v2, v33
	v_pk_fma_f16 v45, v47, v3, v45
	v_pk_mul_f16 v47, v1, v61
	v_pk_fma_f16 v46, v59, v3, v57
	v_pk_fma_f16 v49, v51, v3, v49
	;; [unrolled: 1-line block ×7, first 2 shown]
	v_pk_mul_f16 v25, v1, v25
	v_pk_fma_f16 v48, v66, v2, v50
	v_pk_fma_f16 v47, v63, v3, v47
	v_cvt_f32_f16_e32 v49, v46
	v_lshrrev_b32_e32 v46, 16, v46
	v_lshrrev_b32_e32 v50, 16, v34
	;; [unrolled: 1-line block ×3, first 2 shown]
	v_pk_fma_f16 v38, v64, v4, v47
	v_pk_fma_f16 v37, v39, v3, v37
	;; [unrolled: 1-line block ×3, first 2 shown]
	v_cvt_f32_f16_e32 v34, v34
	v_cvt_f32_f16_e32 v45, v45
	v_lshrrev_b32_e32 v39, 16, v38
	v_cvt_f32_f16_e32 v46, v46
	v_cvt_f32_f16_e32 v50, v50
	v_cvt_f32_f16_e32 v51, v51
	v_pk_fma_f16 v33, v35, v3, v33
	v_cvt_f32_f16_e32 v38, v38
	v_pk_fma_f16 v26, v40, v4, v37
	v_cvt_f32_f16_e32 v37, v39
	v_pk_fma_f16 v25, v27, v3, v25
	v_dual_add_f32 v34, v34, v50 :: v_dual_add_f32 v45, v45, v51
	v_add_f32_e32 v35, v49, v46
	v_pk_fma_f16 v46, v67, v3, v48
	v_pk_fma_f16 v33, v36, v4, v33
	v_add_f32_e32 v37, v38, v37
	v_pk_mul_f16 v38, v1, v53
	v_pk_fma_f16 v25, v28, v4, v25
	v_pk_mul_f16 v28, v1, v41
	v_pk_mul_f16 v29, v1, v29
	;; [unrolled: 1-line block ×7, first 2 shown]
	v_cndmask_b32_e32 v36, 0, v45, vcc_lo
	v_pk_fma_f16 v45, v68, v4, v46
	v_lshrrev_b32_e32 v46, 16, v33
	v_lshrrev_b32_e32 v27, 16, v26
	v_pk_fma_f16 v1, v6, v2, v1
	v_cvt_f32_f16_e32 v33, v33
	v_cvt_f32_f16_e32 v26, v26
	;; [unrolled: 1-line block ×4, first 2 shown]
	v_pk_fma_f16 v1, v7, v3, v1
	v_pk_fma_f16 v38, v54, v2, v38
	v_lshrrev_b32_e32 v40, 16, v25
	s_delay_alu instid0(VALU_DEP_4)
	v_dual_add_f32 v33, v33, v46 :: v_dual_add_f32 v26, v26, v27
	v_pk_fma_f16 v27, v42, v2, v28
	v_pk_fma_f16 v29, v30, v2, v29
	;; [unrolled: 1-line block ×4, first 2 shown]
	v_cvt_f32_f16_e32 v25, v25
	v_pk_fma_f16 v28, v55, v3, v38
	v_cvt_f32_f16_e32 v38, v40
	v_pk_fma_f16 v27, v43, v3, v27
	v_pk_fma_f16 v29, v31, v3, v29
	;; [unrolled: 1-line block ×6, first 2 shown]
	v_lshrrev_b32_e32 v11, 16, v1
	v_pk_fma_f16 v28, v56, v4, v28
	v_pk_fma_f16 v27, v44, v4, v27
	v_pk_fma_f16 v29, v32, v4, v29
	v_pk_fma_f16 v2, v12, v4, v2
	v_mbcnt_lo_u32_b32 v7, -1, 0
	v_cvt_f32_f16_e32 v12, v1
	v_cvt_f32_f16_e32 v11, v11
	v_add_f32_e32 v25, v25, v38
	v_lshrrev_b32_e32 v30, 16, v28
	v_lshrrev_b32_e32 v31, 16, v27
	v_pk_fma_f16 v17, v19, v3, v17
	v_pk_fma_f16 v21, v23, v3, v21
	v_cndmask_b32_e32 v19, 0, v25, vcc_lo
	v_lshrrev_b32_e32 v25, 16, v29
	v_pk_fma_f16 v10, v15, v3, v13
	v_xor_b32_e32 v8, 16, v7
	v_cvt_f32_f16_e32 v18, v30
	v_cvt_f32_f16_e32 v27, v27
	;; [unrolled: 1-line block ×3, first 2 shown]
	v_pk_fma_f16 v17, v20, v4, v17
	v_cvt_f32_f16_e32 v20, v29
	v_cvt_f32_f16_e32 v25, v25
	v_pk_fma_f16 v14, v24, v4, v21
	v_pk_fma_f16 v6, v16, v4, v10
	v_lshrrev_b32_e32 v4, 16, v2
	v_cmp_gt_i32_e64 s2, 32, v8
	v_dual_add_f32 v27, v27, v30 :: v_dual_add_f32 v20, v20, v25
	v_lshrrev_b32_e32 v13, 16, v14
	v_cvt_f32_f16_e32 v2, v2
	v_cvt_f32_f16_e32 v4, v4
	v_cndmask_b32_e64 v8, v7, v8, s2
	v_dual_cndmask_b32 v35, 0, v35 :: v_dual_cndmask_b32 v34, 0, v34
	v_dual_cndmask_b32 v20, 0, v20 :: v_dual_cndmask_b32 v37, 0, v37
	s_delay_alu instid0(VALU_DEP_4)
	v_add_f32_e32 v2, v2, v4
	v_cvt_f32_f16_e32 v5, v14
	v_cvt_f32_f16_e32 v10, v13
	v_dual_add_f32 v4, v12, v11 :: v_dual_lshlrev_b32 v1, 2, v8
	v_cndmask_b32_e32 v27, 0, v27, vcc_lo
	v_lshrrev_b32_e32 v3, 16, v6
	v_cvt_f32_f16_e32 v6, v6
	v_cvt_f32_f16_e32 v28, v28
	v_cndmask_b32_e32 v4, 0, v4, vcc_lo
	ds_bpermute_b32 v21, v1, v27
	v_add_f32_e32 v5, v5, v10
	ds_bpermute_b32 v10, v1, v34
	v_cvt_f32_f16_e32 v3, v3
	v_dual_cndmask_b32 v33, 0, v33 :: v_dual_add_f32 v18, v28, v18
	v_lshrrev_b32_e32 v48, 16, v45
	s_delay_alu instid0(VALU_DEP_3) | instskip(SKIP_2) | instid1(VALU_DEP_4)
	v_dual_cndmask_b32 v8, 0, v2 :: v_dual_add_f32 v3, v6, v3
	v_cvt_f32_f16_e32 v45, v45
	v_lshrrev_b32_e32 v28, 16, v17
	v_cvt_f32_f16_e32 v47, v48
	v_cvt_f32_f16_e32 v17, v17
	v_cndmask_b32_e32 v26, 0, v26, vcc_lo
	v_cndmask_b32_e32 v18, 0, v18, vcc_lo
	v_cvt_f32_f16_e32 v22, v28
	v_add_f32_e32 v45, v45, v47
	v_xor_b32_e32 v2, 8, v7
	s_mov_b32 s2, exec_lo
	s_waitcnt lgkmcnt(0)
	s_delay_alu instid0(VALU_DEP_2)
	v_dual_cndmask_b32 v39, 0, v45 :: v_dual_add_f32 v10, v34, v10
	ds_bpermute_b32 v6, v1, v35
	ds_bpermute_b32 v12, v1, v33
	;; [unrolled: 1-line block ×3, first 2 shown]
	v_add_f32_e32 v17, v17, v22
	ds_bpermute_b32 v15, v1, v26
	ds_bpermute_b32 v22, v1, v20
	;; [unrolled: 1-line block ×7, first 2 shown]
	s_waitcnt lgkmcnt(9)
	v_dual_add_f32 v6, v35, v6 :: v_dual_cndmask_b32 v3, 0, v3
	s_waitcnt lgkmcnt(8)
	v_add_f32_e32 v12, v33, v12
	s_waitcnt lgkmcnt(7)
	v_dual_add_f32 v16, v19, v16 :: v_dual_cndmask_b32 v9, 0, v17
	ds_bpermute_b32 v17, v1, v18
	ds_bpermute_b32 v25, v1, v3
	s_waitcnt lgkmcnt(8)
	v_add_f32_e32 v15, v26, v15
	s_waitcnt lgkmcnt(7)
	v_add_f32_e32 v19, v20, v22
	s_waitcnt lgkmcnt(5)
	v_dual_add_f32 v11, v36, v11 :: v_dual_add_f32 v14, v37, v14
	s_waitcnt lgkmcnt(4)
	v_add_f32_e32 v4, v4, v29
	v_xor_b32_e32 v29, 4, v7
	s_waitcnt lgkmcnt(2)
	v_dual_add_f32 v13, v39, v13 :: v_dual_add_f32 v8, v8, v28
	s_waitcnt lgkmcnt(0)
	v_add_f32_e32 v20, v3, v25
	v_add_f32_e32 v17, v18, v17
	;; [unrolled: 1-line block ×3, first 2 shown]
	v_cndmask_b32_e32 v5, 0, v5, vcc_lo
	v_cmp_gt_i32_e32 vcc_lo, 32, v2
	v_cndmask_b32_e32 v2, v7, v2, vcc_lo
	ds_bpermute_b32 v23, v1, v9
	v_cmp_gt_i32_e32 vcc_lo, 32, v29
	v_lshlrev_b32_e32 v2, 2, v2
	ds_bpermute_b32 v24, v1, v5
	ds_bpermute_b32 v31, v2, v10
	;; [unrolled: 1-line block ×10, first 2 shown]
	s_waitcnt lgkmcnt(10)
	v_add_f32_e32 v9, v9, v23
	ds_bpermute_b32 v23, v2, v14
	v_cndmask_b32_e32 v29, v7, v29, vcc_lo
	s_waitcnt lgkmcnt(10)
	v_add_f32_e32 v5, v5, v24
	ds_bpermute_b32 v24, v2, v15
	s_waitcnt lgkmcnt(10)
	v_add_f32_e32 v10, v10, v31
	s_waitcnt lgkmcnt(8)
	v_dual_add_f32 v11, v11, v3 :: v_dual_add_f32 v12, v12, v21
	ds_bpermute_b32 v21, v2, v4
	s_waitcnt lgkmcnt(8)
	v_add_f32_e32 v20, v20, v32
	ds_bpermute_b32 v26, v2, v17
	s_waitcnt lgkmcnt(8)
	v_add_f32_e32 v6, v6, v30
	ds_bpermute_b32 v30, v2, v9
	ds_bpermute_b32 v31, v2, v5
	s_waitcnt lgkmcnt(9)
	v_add_f32_e32 v18, v18, v27
	ds_bpermute_b32 v28, v2, v19
	s_waitcnt lgkmcnt(8)
	v_dual_add_f32 v13, v13, v22 :: v_dual_add_f32 v16, v16, v25
	s_waitcnt lgkmcnt(6)
	v_dual_add_f32 v14, v14, v23 :: v_dual_lshlrev_b32 v3, 2, v29
	s_waitcnt lgkmcnt(5)
	v_dual_add_f32 v8, v8, v33 :: v_dual_add_f32 v15, v15, v24
	ds_bpermute_b32 v23, v3, v10
	ds_bpermute_b32 v22, v3, v6
	;; [unrolled: 1-line block ×5, first 2 shown]
	s_waitcnt lgkmcnt(9)
	v_add_f32_e32 v21, v4, v21
	s_waitcnt lgkmcnt(8)
	v_add_f32_e32 v17, v17, v26
	ds_bpermute_b32 v26, v3, v13
	v_xor_b32_e32 v4, 2, v7
	s_waitcnt lgkmcnt(8)
	v_add_f32_e32 v9, v9, v30
	ds_bpermute_b32 v29, v3, v16
	s_waitcnt lgkmcnt(7)
	v_add_f32_e32 v19, v19, v28
	ds_bpermute_b32 v28, v3, v15
	v_cmp_gt_i32_e32 vcc_lo, 32, v4
	v_add_f32_e32 v5, v5, v31
	ds_bpermute_b32 v31, v3, v18
	v_cndmask_b32_e32 v4, v7, v4, vcc_lo
	ds_bpermute_b32 v34, v3, v5
	s_waitcnt lgkmcnt(9)
	v_add_f32_e32 v10, v10, v23
	ds_bpermute_b32 v30, v3, v17
	s_waitcnt lgkmcnt(9)
	v_add_f32_e32 v6, v6, v22
	;; [unrolled: 3-line block ×4, first 2 shown]
	ds_bpermute_b32 v33, v3, v9
	s_waitcnt lgkmcnt(8)
	v_dual_add_f32 v13, v13, v26 :: v_dual_lshlrev_b32 v4, 2, v4
	ds_bpermute_b32 v23, v3, v8
	v_add_f32_e32 v14, v14, v27
	ds_bpermute_b32 v24, v3, v21
	s_waitcnt lgkmcnt(8)
	v_dual_add_f32 v15, v15, v28 :: v_dual_add_f32 v16, v16, v29
	s_waitcnt lgkmcnt(7)
	v_add_f32_e32 v18, v18, v31
	ds_bpermute_b32 v28, v4, v12
	ds_bpermute_b32 v29, v4, v14
	s_waitcnt lgkmcnt(8)
	v_add_f32_e32 v27, v5, v34
	ds_bpermute_b32 v5, v4, v6
	s_waitcnt lgkmcnt(8)
	v_add_f32_e32 v25, v17, v30
	;; [unrolled: 3-line block ×5, first 2 shown]
	ds_bpermute_b32 v30, v4, v15
	ds_bpermute_b32 v34, v4, v16
	s_waitcnt lgkmcnt(9)
	v_add_f32_e32 v8, v8, v23
	ds_bpermute_b32 v35, v4, v18
	s_waitcnt lgkmcnt(9)
	v_add_f32_e32 v23, v21, v24
	ds_bpermute_b32 v24, v4, v25
	ds_bpermute_b32 v36, v4, v26
	;; [unrolled: 1-line block ×6, first 2 shown]
	s_waitcnt lgkmcnt(14)
	v_add_f32_e32 v21, v12, v28
	s_waitcnt lgkmcnt(12)
	v_add_f32_e32 v31, v6, v5
	v_xor_b32_e32 v5, 1, v7
	s_waitcnt lgkmcnt(11)
	v_add_f32_e32 v32, v10, v17
	ds_bpermute_b32 v41, v4, v23
	s_waitcnt lgkmcnt(11)
	v_add_f32_e32 v33, v11, v19
	v_add_f32_e32 v19, v14, v29
	v_cmp_gt_i32_e32 vcc_lo, 32, v5
	s_waitcnt lgkmcnt(10)
	v_add_f32_e32 v22, v13, v22
	s_waitcnt lgkmcnt(9)
	v_add_f32_e32 v17, v15, v30
	;; [unrolled: 2-line block ×3, first 2 shown]
	v_lshrrev_b32_e32 v6, 5, v0
	s_waitcnt lgkmcnt(7)
	v_dual_cndmask_b32 v5, v7, v5 :: v_dual_add_f32 v14, v18, v35
	s_waitcnt lgkmcnt(6)
	v_add_f32_e32 v16, v25, v24
	s_waitcnt lgkmcnt(4)
	v_dual_add_f32 v13, v26, v36 :: v_dual_add_f32 v12, v9, v37
	v_lshlrev_b32_e32 v5, 2, v5
	s_waitcnt lgkmcnt(2)
	v_dual_add_f32 v11, v27, v38 :: v_dual_add_f32 v10, v20, v39
	s_waitcnt lgkmcnt(1)
	v_add_f32_e32 v9, v8, v40
	v_and_b32_e32 v7, 31, v0
	ds_bpermute_b32 v37, v5, v31
	ds_bpermute_b32 v38, v5, v32
	s_waitcnt lgkmcnt(2)
	v_add_f32_e32 v8, v23, v41
	ds_bpermute_b32 v39, v5, v33
	ds_bpermute_b32 v36, v5, v21
	;; [unrolled: 1-line block ×14, first 2 shown]
	v_cmpx_gt_u32_e32 16, v7
	s_cbranch_execz .LBB3_4
; %bb.3:
	s_waitcnt lgkmcnt(14)
	v_dual_add_f32 v31, v31, v37 :: v_dual_add_f32 v32, v32, v38
	v_cmp_eq_u32_e32 vcc_lo, 1, v7
	s_waitcnt lgkmcnt(7)
	v_dual_add_f32 v33, v33, v39 :: v_dual_add_f32 v16, v16, v28
	s_waitcnt lgkmcnt(6)
	v_dual_add_f32 v21, v21, v36 :: v_dual_add_f32 v14, v14, v27
	v_dual_cndmask_b32 v31, v31, v32 :: v_dual_add_f32 v22, v22, v35
	v_cmp_eq_u32_e32 vcc_lo, 2, v7
	s_waitcnt lgkmcnt(4)
	v_dual_add_f32 v19, v19, v34 :: v_dual_add_f32 v12, v12, v25
	v_add_f32_e32 v17, v17, v30
	s_waitcnt lgkmcnt(0)
	v_dual_add_f32 v15, v15, v29 :: v_dual_add_f32 v8, v8, v18
	v_cndmask_b32_e32 v31, v31, v33, vcc_lo
	v_cmp_eq_u32_e32 vcc_lo, 3, v7
	v_dual_add_f32 v10, v10, v23 :: v_dual_add_f32 v13, v13, v26
	v_add_f32_e32 v11, v11, v24
	v_add_f32_e32 v9, v9, v20
	v_cndmask_b32_e32 v21, v31, v21, vcc_lo
	v_cmp_eq_u32_e32 vcc_lo, 4, v7
	s_delay_alu instid0(VALU_DEP_2) | instskip(SKIP_1) | instid1(VALU_DEP_2)
	v_cndmask_b32_e32 v21, v21, v22, vcc_lo
	v_cmp_eq_u32_e32 vcc_lo, 5, v7
	v_cndmask_b32_e32 v19, v21, v19, vcc_lo
	v_cmp_eq_u32_e32 vcc_lo, 6, v7
	s_delay_alu instid0(VALU_DEP_2) | instskip(SKIP_1) | instid1(VALU_DEP_2)
	v_cndmask_b32_e32 v17, v19, v17, vcc_lo
	v_cmp_eq_u32_e32 vcc_lo, 7, v7
	;; [unrolled: 5-line block ×5, first 2 shown]
	v_cndmask_b32_e32 v10, v11, v10, vcc_lo
	v_cmp_eq_u32_e32 vcc_lo, 14, v7
	v_lshlrev_b32_e32 v11, 2, v6
	s_delay_alu instid0(VALU_DEP_3) | instskip(SKIP_1) | instid1(VALU_DEP_3)
	v_cndmask_b32_e32 v9, v10, v9, vcc_lo
	v_cmp_eq_u32_e32 vcc_lo, 15, v7
	v_lshl_or_b32 v10, v7, 7, v11
	s_delay_alu instid0(VALU_DEP_3)
	v_cndmask_b32_e32 v8, v9, v8, vcc_lo
	ds_store_b32 v10, v8
.LBB3_4:
	s_or_b32 exec_lo, exec_lo, s2
	s_waitcnt lgkmcnt(0)
	s_barrier
	buffer_gl0_inv
	s_mov_b32 s2, exec_lo
	v_cmpx_gt_u32_e32 0x100, v0
	s_cbranch_execz .LBB3_9
; %bb.5:
	s_load_b32 s0, s[0:1], 0x2c
	v_and_b32_e32 v8, 15, v0
	v_mov_b32_e32 v0, 0
	s_waitcnt lgkmcnt(0)
	s_and_b32 s0, 0xffff, s0
	s_delay_alu instid0(SALU_CYCLE_1) | instskip(NEXT) | instid1(SALU_CYCLE_1)
	s_lshr_b32 s0, s0, 5
	v_cmp_gt_u32_e32 vcc_lo, s0, v8
	s_and_saveexec_b32 s0, vcc_lo
	s_cbranch_execz .LBB3_7
; %bb.6:
	v_lshlrev_b32_e32 v0, 2, v8
	s_delay_alu instid0(VALU_DEP_1)
	v_and_or_b32 v0, 0x1f80, v69, v0
	ds_load_b32 v0, v0
.LBB3_7:
	s_or_b32 exec_lo, exec_lo, s0
	s_waitcnt lgkmcnt(0)
	ds_bpermute_b32 v2, v2, v0
	v_cmp_eq_u32_e32 vcc_lo, 0, v7
	s_waitcnt lgkmcnt(0)
	v_add_f32_e32 v0, v0, v2
	ds_bpermute_b32 v2, v3, v0
	s_waitcnt lgkmcnt(0)
	v_add_f32_e32 v0, v0, v2
	ds_bpermute_b32 v2, v4, v0
	;; [unrolled: 3-line block ×4, first 2 shown]
	s_and_b32 exec_lo, exec_lo, vcc_lo
	s_cbranch_execz .LBB3_9
; %bb.8:
	s_lshl_b32 s0, s15, 3
	v_mov_b32_e32 v3, 0
	v_and_or_b32 v2, 0x7ffffff8, s0, v6
	v_cvt_f16_f32_e32 v4, v0
	s_waitcnt lgkmcnt(0)
	v_cvt_f16_f32_e32 v5, v1
	s_delay_alu instid0(VALU_DEP_3) | instskip(NEXT) | instid1(VALU_DEP_2)
	v_lshlrev_b64 v[0:1], 2, v[2:3]
	v_pack_b32_f16 v2, v4, v5
	s_delay_alu instid0(VALU_DEP_2) | instskip(NEXT) | instid1(VALU_DEP_3)
	v_add_co_u32 v0, vcc_lo, s8, v0
	v_add_co_ci_u32_e32 v1, vcc_lo, s9, v1, vcc_lo
	global_store_b32 v[0:1], v2, off
.LBB3_9:
	s_nop 0
	s_sendmsg sendmsg(MSG_DEALLOC_VGPRS)
	s_endpgm
	.section	.rodata,"a",@progbits
	.p2align	6, 0x0
	.amdhsa_kernel _Z14LLGemm1_kernelIN3c104HalfELi16EEvPKT_S4_PS2_i
		.amdhsa_group_segment_fixed_size 2048
		.amdhsa_private_segment_fixed_size 0
		.amdhsa_kernarg_size 288
		.amdhsa_user_sgpr_count 15
		.amdhsa_user_sgpr_dispatch_ptr 0
		.amdhsa_user_sgpr_queue_ptr 0
		.amdhsa_user_sgpr_kernarg_segment_ptr 1
		.amdhsa_user_sgpr_dispatch_id 0
		.amdhsa_user_sgpr_private_segment_size 0
		.amdhsa_wavefront_size32 1
		.amdhsa_uses_dynamic_stack 0
		.amdhsa_enable_private_segment 0
		.amdhsa_system_sgpr_workgroup_id_x 1
		.amdhsa_system_sgpr_workgroup_id_y 0
		.amdhsa_system_sgpr_workgroup_id_z 0
		.amdhsa_system_sgpr_workgroup_info 0
		.amdhsa_system_vgpr_workitem_id 0
		.amdhsa_next_free_vgpr 71
		.amdhsa_next_free_sgpr 18
		.amdhsa_reserve_vcc 1
		.amdhsa_float_round_mode_32 0
		.amdhsa_float_round_mode_16_64 0
		.amdhsa_float_denorm_mode_32 3
		.amdhsa_float_denorm_mode_16_64 3
		.amdhsa_dx10_clamp 1
		.amdhsa_ieee_mode 1
		.amdhsa_fp16_overflow 0
		.amdhsa_workgroup_processor_mode 1
		.amdhsa_memory_ordered 1
		.amdhsa_forward_progress 0
		.amdhsa_shared_vgpr_count 0
		.amdhsa_exception_fp_ieee_invalid_op 0
		.amdhsa_exception_fp_denorm_src 0
		.amdhsa_exception_fp_ieee_div_zero 0
		.amdhsa_exception_fp_ieee_overflow 0
		.amdhsa_exception_fp_ieee_underflow 0
		.amdhsa_exception_fp_ieee_inexact 0
		.amdhsa_exception_int_div_zero 0
	.end_amdhsa_kernel
	.section	.text._Z14LLGemm1_kernelIN3c104HalfELi16EEvPKT_S4_PS2_i,"axG",@progbits,_Z14LLGemm1_kernelIN3c104HalfELi16EEvPKT_S4_PS2_i,comdat
.Lfunc_end3:
	.size	_Z14LLGemm1_kernelIN3c104HalfELi16EEvPKT_S4_PS2_i, .Lfunc_end3-_Z14LLGemm1_kernelIN3c104HalfELi16EEvPKT_S4_PS2_i
                                        ; -- End function
	.section	.AMDGPU.csdata,"",@progbits
; Kernel info:
; codeLenInByte = 3392
; NumSgprs: 20
; NumVgprs: 71
; ScratchSize: 0
; MemoryBound: 0
; FloatMode: 240
; IeeeMode: 1
; LDSByteSize: 2048 bytes/workgroup (compile time only)
; SGPRBlocks: 2
; VGPRBlocks: 8
; NumSGPRsForWavesPerEU: 20
; NumVGPRsForWavesPerEU: 71
; Occupancy: 16
; WaveLimiterHint : 0
; COMPUTE_PGM_RSRC2:SCRATCH_EN: 0
; COMPUTE_PGM_RSRC2:USER_SGPR: 15
; COMPUTE_PGM_RSRC2:TRAP_HANDLER: 0
; COMPUTE_PGM_RSRC2:TGID_X_EN: 1
; COMPUTE_PGM_RSRC2:TGID_Y_EN: 0
; COMPUTE_PGM_RSRC2:TGID_Z_EN: 0
; COMPUTE_PGM_RSRC2:TIDIG_COMP_CNT: 0
	.section	.text._Z14LLGemm1_kernelIN3c108BFloat16ELi2EEvPKT_S4_PS2_i,"axG",@progbits,_Z14LLGemm1_kernelIN3c108BFloat16ELi2EEvPKT_S4_PS2_i,comdat
	.protected	_Z14LLGemm1_kernelIN3c108BFloat16ELi2EEvPKT_S4_PS2_i ; -- Begin function _Z14LLGemm1_kernelIN3c108BFloat16ELi2EEvPKT_S4_PS2_i
	.globl	_Z14LLGemm1_kernelIN3c108BFloat16ELi2EEvPKT_S4_PS2_i
	.p2align	8
	.type	_Z14LLGemm1_kernelIN3c108BFloat16ELi2EEvPKT_S4_PS2_i,@function
_Z14LLGemm1_kernelIN3c108BFloat16ELi2EEvPKT_S4_PS2_i: ; @_Z14LLGemm1_kernelIN3c108BFloat16ELi2EEvPKT_S4_PS2_i
; %bb.0:
	s_clause 0x2
	s_load_b32 s2, s[0:1], 0x18
	s_load_b128 s[4:7], s[0:1], 0x0
	s_load_b64 s[8:9], s[0:1], 0x10
	v_dual_mov_b32 v14, 0 :: v_dual_lshlrev_b32 v9, 3, v0
	v_dual_mov_b32 v11, 0 :: v_dual_mov_b32 v10, 0
	v_dual_mov_b32 v13, 0 :: v_dual_mov_b32 v12, 0
	;; [unrolled: 1-line block ×3, first 2 shown]
	v_mov_b32_e32 v17, 0
	s_mov_b32 s11, 0
                                        ; implicit-def: $vgpr1
                                        ; implicit-def: $vgpr5
	s_waitcnt lgkmcnt(0)
	v_cmp_gt_i32_e32 vcc_lo, s2, v9
	s_and_saveexec_b32 s3, vcc_lo
	s_cbranch_execz .LBB4_2
; %bb.1:
	s_mul_i32 s10, s15, s2
	v_lshlrev_b32_e32 v3, 4, v0
	s_bfe_u32 s10, s10, 0x1d0002
	s_delay_alu instid0(SALU_CYCLE_1) | instskip(SKIP_3) | instid1(VALU_DEP_1)
	v_dual_mov_b32 v2, 0 :: v_dual_add_nc_u32 v1, s10, v0
	s_lshr_b32 s10, s2, 3
	global_load_b128 v[17:20], v3, s[6:7]
	v_lshlrev_b64 v[1:2], 4, v[1:2]
	v_add_co_u32 v1, s2, s4, v1
	s_delay_alu instid0(VALU_DEP_1)
	v_add_co_ci_u32_e64 v2, s2, s5, v2, s2
	s_lshl_b64 s[4:5], s[10:11], 4
	s_delay_alu instid0(VALU_DEP_2) | instid1(SALU_CYCLE_1)
	v_add_co_u32 v3, s2, v1, s4
	s_delay_alu instid0(VALU_DEP_1)
	v_add_co_ci_u32_e64 v4, s2, s5, v2, s2
	s_clause 0x1
	global_load_b128 v[5:8], v[1:2], off slc dlc
	global_load_b128 v[1:4], v[3:4], off slc dlc
	s_waitcnt vmcnt(2)
	v_and_b32_e32 v16, 0xffff0000, v17
	v_lshlrev_b32_e32 v17, 16, v17
	v_and_b32_e32 v14, 0xffff0000, v18
	v_lshlrev_b32_e32 v15, 16, v18
	;; [unrolled: 2-line block ×4, first 2 shown]
.LBB4_2:
	s_or_b32 exec_lo, exec_lo, s3
	s_waitcnt vmcnt(1)
	v_lshlrev_b32_e32 v18, 16, v5
	s_delay_alu instid0(VALU_DEP_1) | instskip(NEXT) | instid1(VALU_DEP_1)
	v_mul_f32_e32 v19, v17, v18
	v_and_b32_e32 v18, 0x7f800000, v19
	s_delay_alu instid0(VALU_DEP_1) | instskip(NEXT) | instid1(VALU_DEP_1)
	v_cmp_ne_u32_e64 s2, 0x7f800000, v18
                                        ; implicit-def: $vgpr18
	s_and_saveexec_b32 s3, s2
	s_delay_alu instid0(SALU_CYCLE_1)
	s_xor_b32 s2, exec_lo, s3
; %bb.3:
	v_bfe_u32 v18, v19, 16, 1
	s_delay_alu instid0(VALU_DEP_1)
	v_add3_u32 v18, v19, v18, 0x7fff
                                        ; implicit-def: $vgpr19
; %bb.4:
	s_and_not1_saveexec_b32 s3, s2
; %bb.5:
	v_and_b32_e32 v18, 0xffff, v19
	v_or_b32_e32 v20, 0x10000, v19
	s_delay_alu instid0(VALU_DEP_2) | instskip(NEXT) | instid1(VALU_DEP_1)
	v_cmp_eq_u32_e64 s2, 0, v18
	v_cndmask_b32_e64 v18, v20, v19, s2
; %bb.6:
	s_or_b32 exec_lo, exec_lo, s3
	v_and_b32_e32 v5, 0xffff0000, v5
	s_delay_alu instid0(VALU_DEP_1) | instskip(NEXT) | instid1(VALU_DEP_1)
	v_mul_f32_e32 v19, v16, v5
	v_and_b32_e32 v5, 0x7f800000, v19
	s_delay_alu instid0(VALU_DEP_1) | instskip(NEXT) | instid1(VALU_DEP_1)
	v_cmp_ne_u32_e64 s2, 0x7f800000, v5
                                        ; implicit-def: $vgpr5
	s_and_saveexec_b32 s3, s2
	s_delay_alu instid0(SALU_CYCLE_1)
	s_xor_b32 s2, exec_lo, s3
; %bb.7:
	v_bfe_u32 v5, v19, 16, 1
	s_delay_alu instid0(VALU_DEP_1)
	v_add3_u32 v5, v19, v5, 0x7fff
                                        ; implicit-def: $vgpr19
; %bb.8:
	s_and_not1_saveexec_b32 s3, s2
; %bb.9:
	v_and_b32_e32 v5, 0xffff, v19
	v_or_b32_e32 v20, 0x10000, v19
	s_delay_alu instid0(VALU_DEP_2) | instskip(NEXT) | instid1(VALU_DEP_1)
	v_cmp_eq_u32_e64 s2, 0, v5
	v_cndmask_b32_e64 v5, v20, v19, s2
; %bb.10:
	s_or_b32 exec_lo, exec_lo, s3
	v_and_b32_e32 v19, 0xffff0000, v18
	v_lshlrev_b32_e32 v18, 16, v6
	s_delay_alu instid0(VALU_DEP_1) | instskip(NEXT) | instid1(VALU_DEP_1)
	v_fmac_f32_e32 v19, v18, v15
	v_and_b32_e32 v18, 0x7f800000, v19
	s_delay_alu instid0(VALU_DEP_1) | instskip(NEXT) | instid1(VALU_DEP_1)
	v_cmp_ne_u32_e64 s2, 0x7f800000, v18
                                        ; implicit-def: $vgpr18
	s_and_saveexec_b32 s3, s2
	s_delay_alu instid0(SALU_CYCLE_1)
	s_xor_b32 s2, exec_lo, s3
; %bb.11:
	v_bfe_u32 v18, v19, 16, 1
	s_delay_alu instid0(VALU_DEP_1)
	v_add3_u32 v18, v19, v18, 0x7fff
                                        ; implicit-def: $vgpr19
; %bb.12:
	s_and_not1_saveexec_b32 s3, s2
; %bb.13:
	v_and_b32_e32 v18, 0xffff, v19
	v_or_b32_e32 v20, 0x10000, v19
	s_delay_alu instid0(VALU_DEP_2) | instskip(NEXT) | instid1(VALU_DEP_1)
	v_cmp_eq_u32_e64 s2, 0, v18
	v_cndmask_b32_e64 v18, v20, v19, s2
; %bb.14:
	s_or_b32 exec_lo, exec_lo, s3
	v_and_b32_e32 v19, 0xffff0000, v5
	v_and_b32_e32 v5, 0xffff0000, v6
	s_delay_alu instid0(VALU_DEP_1) | instskip(NEXT) | instid1(VALU_DEP_1)
	v_fmac_f32_e32 v19, v5, v14
	v_and_b32_e32 v5, 0x7f800000, v19
	s_delay_alu instid0(VALU_DEP_1) | instskip(NEXT) | instid1(VALU_DEP_1)
	v_cmp_ne_u32_e64 s2, 0x7f800000, v5
                                        ; implicit-def: $vgpr5
	s_and_saveexec_b32 s3, s2
	s_delay_alu instid0(SALU_CYCLE_1)
	s_xor_b32 s2, exec_lo, s3
; %bb.15:
	v_bfe_u32 v5, v19, 16, 1
	s_delay_alu instid0(VALU_DEP_1)
	v_add3_u32 v5, v19, v5, 0x7fff
                                        ; implicit-def: $vgpr19
; %bb.16:
	s_and_not1_saveexec_b32 s3, s2
; %bb.17:
	v_and_b32_e32 v5, 0xffff, v19
	v_or_b32_e32 v6, 0x10000, v19
	s_delay_alu instid0(VALU_DEP_2) | instskip(NEXT) | instid1(VALU_DEP_1)
	v_cmp_eq_u32_e64 s2, 0, v5
	v_cndmask_b32_e64 v5, v6, v19, s2
; %bb.18:
	s_or_b32 exec_lo, exec_lo, s3
	v_and_b32_e32 v18, 0xffff0000, v18
	v_lshlrev_b32_e32 v6, 16, v7
	s_delay_alu instid0(VALU_DEP_1) | instskip(NEXT) | instid1(VALU_DEP_1)
	v_fmac_f32_e32 v18, v6, v13
	v_and_b32_e32 v6, 0x7f800000, v18
	s_delay_alu instid0(VALU_DEP_1) | instskip(NEXT) | instid1(VALU_DEP_1)
	v_cmp_ne_u32_e64 s2, 0x7f800000, v6
                                        ; implicit-def: $vgpr6
	s_and_saveexec_b32 s3, s2
	s_delay_alu instid0(SALU_CYCLE_1)
	s_xor_b32 s2, exec_lo, s3
; %bb.19:
	v_bfe_u32 v6, v18, 16, 1
	s_delay_alu instid0(VALU_DEP_1)
	v_add3_u32 v6, v18, v6, 0x7fff
                                        ; implicit-def: $vgpr18
; %bb.20:
	s_and_not1_saveexec_b32 s3, s2
; %bb.21:
	v_and_b32_e32 v6, 0xffff, v18
	v_or_b32_e32 v19, 0x10000, v18
	s_delay_alu instid0(VALU_DEP_2) | instskip(NEXT) | instid1(VALU_DEP_1)
	v_cmp_eq_u32_e64 s2, 0, v6
	v_cndmask_b32_e64 v6, v19, v18, s2
; %bb.22:
	s_or_b32 exec_lo, exec_lo, s3
	v_and_b32_e32 v5, 0xffff0000, v5
	v_and_b32_e32 v7, 0xffff0000, v7
	s_delay_alu instid0(VALU_DEP_1) | instskip(NEXT) | instid1(VALU_DEP_1)
	v_fmac_f32_e32 v5, v7, v12
	v_and_b32_e32 v7, 0x7f800000, v5
	s_delay_alu instid0(VALU_DEP_1) | instskip(NEXT) | instid1(VALU_DEP_1)
	v_cmp_ne_u32_e64 s2, 0x7f800000, v7
                                        ; implicit-def: $vgpr7
	s_and_saveexec_b32 s3, s2
	s_delay_alu instid0(SALU_CYCLE_1)
	s_xor_b32 s2, exec_lo, s3
; %bb.23:
	v_bfe_u32 v7, v5, 16, 1
	s_delay_alu instid0(VALU_DEP_1)
	v_add3_u32 v7, v5, v7, 0x7fff
                                        ; implicit-def: $vgpr5
; %bb.24:
	s_and_not1_saveexec_b32 s3, s2
; %bb.25:
	v_and_b32_e32 v7, 0xffff, v5
	v_or_b32_e32 v18, 0x10000, v5
	s_delay_alu instid0(VALU_DEP_2) | instskip(NEXT) | instid1(VALU_DEP_1)
	v_cmp_eq_u32_e64 s2, 0, v7
	v_cndmask_b32_e64 v7, v18, v5, s2
; %bb.26:
	s_or_b32 exec_lo, exec_lo, s3
	v_and_b32_e32 v6, 0xffff0000, v6
	v_lshlrev_b32_e32 v5, 16, v8
	s_delay_alu instid0(VALU_DEP_1) | instskip(NEXT) | instid1(VALU_DEP_1)
	v_fmac_f32_e32 v6, v5, v11
	v_and_b32_e32 v5, 0x7f800000, v6
	s_delay_alu instid0(VALU_DEP_1) | instskip(NEXT) | instid1(VALU_DEP_1)
	v_cmp_ne_u32_e64 s2, 0x7f800000, v5
                                        ; implicit-def: $vgpr5
	s_and_saveexec_b32 s3, s2
	s_delay_alu instid0(SALU_CYCLE_1)
	s_xor_b32 s2, exec_lo, s3
; %bb.27:
	v_bfe_u32 v5, v6, 16, 1
	s_delay_alu instid0(VALU_DEP_1)
	v_add3_u32 v5, v6, v5, 0x7fff
                                        ; implicit-def: $vgpr6
; %bb.28:
	s_and_not1_saveexec_b32 s3, s2
; %bb.29:
	v_and_b32_e32 v5, 0xffff, v6
	v_or_b32_e32 v18, 0x10000, v6
	s_delay_alu instid0(VALU_DEP_2) | instskip(NEXT) | instid1(VALU_DEP_1)
	v_cmp_eq_u32_e64 s2, 0, v5
	v_cndmask_b32_e64 v5, v18, v6, s2
; %bb.30:
	s_or_b32 exec_lo, exec_lo, s3
	v_and_b32_e32 v7, 0xffff0000, v7
	v_and_b32_e32 v6, 0xffff0000, v8
	s_delay_alu instid0(VALU_DEP_1) | instskip(NEXT) | instid1(VALU_DEP_1)
	v_fmac_f32_e32 v7, v6, v10
	v_and_b32_e32 v6, 0x7f800000, v7
	s_delay_alu instid0(VALU_DEP_1) | instskip(NEXT) | instid1(VALU_DEP_1)
	v_cmp_ne_u32_e64 s2, 0x7f800000, v6
                                        ; implicit-def: $vgpr6
	s_and_saveexec_b32 s3, s2
	s_delay_alu instid0(SALU_CYCLE_1)
	s_xor_b32 s2, exec_lo, s3
; %bb.31:
	v_bfe_u32 v6, v7, 16, 1
	s_delay_alu instid0(VALU_DEP_1)
	v_add3_u32 v6, v7, v6, 0x7fff
                                        ; implicit-def: $vgpr7
; %bb.32:
	s_and_not1_saveexec_b32 s3, s2
; %bb.33:
	v_and_b32_e32 v6, 0xffff, v7
	v_or_b32_e32 v8, 0x10000, v7
	s_delay_alu instid0(VALU_DEP_2) | instskip(NEXT) | instid1(VALU_DEP_1)
	v_cmp_eq_u32_e64 s2, 0, v6
	v_cndmask_b32_e64 v6, v8, v7, s2
; %bb.34:
	s_or_b32 exec_lo, exec_lo, s3
	s_waitcnt vmcnt(0)
	v_lshlrev_b32_e32 v7, 16, v1
	s_delay_alu instid0(VALU_DEP_1) | instskip(NEXT) | instid1(VALU_DEP_1)
	v_mul_f32_e32 v8, v17, v7
	v_and_b32_e32 v7, 0x7f800000, v8
	s_delay_alu instid0(VALU_DEP_1) | instskip(NEXT) | instid1(VALU_DEP_1)
	v_cmp_ne_u32_e64 s2, 0x7f800000, v7
                                        ; implicit-def: $vgpr7
	s_and_saveexec_b32 s3, s2
	s_delay_alu instid0(SALU_CYCLE_1)
	s_xor_b32 s2, exec_lo, s3
; %bb.35:
	v_bfe_u32 v7, v8, 16, 1
	s_delay_alu instid0(VALU_DEP_1)
	v_add3_u32 v7, v8, v7, 0x7fff
                                        ; implicit-def: $vgpr8
; %bb.36:
	s_and_not1_saveexec_b32 s3, s2
; %bb.37:
	v_and_b32_e32 v7, 0xffff, v8
	v_or_b32_e32 v17, 0x10000, v8
	s_delay_alu instid0(VALU_DEP_2) | instskip(NEXT) | instid1(VALU_DEP_1)
	v_cmp_eq_u32_e64 s2, 0, v7
	v_cndmask_b32_e64 v7, v17, v8, s2
; %bb.38:
	s_or_b32 exec_lo, exec_lo, s3
	v_and_b32_e32 v1, 0xffff0000, v1
	s_delay_alu instid0(VALU_DEP_1) | instskip(NEXT) | instid1(VALU_DEP_1)
	v_mul_f32_e32 v8, v16, v1
	v_and_b32_e32 v1, 0x7f800000, v8
	s_delay_alu instid0(VALU_DEP_1) | instskip(NEXT) | instid1(VALU_DEP_1)
	v_cmp_ne_u32_e64 s2, 0x7f800000, v1
                                        ; implicit-def: $vgpr1
	s_and_saveexec_b32 s3, s2
	s_delay_alu instid0(SALU_CYCLE_1)
	s_xor_b32 s2, exec_lo, s3
; %bb.39:
	v_bfe_u32 v1, v8, 16, 1
	s_delay_alu instid0(VALU_DEP_1)
	v_add3_u32 v1, v8, v1, 0x7fff
                                        ; implicit-def: $vgpr8
; %bb.40:
	s_and_not1_saveexec_b32 s3, s2
; %bb.41:
	v_and_b32_e32 v1, 0xffff, v8
	v_or_b32_e32 v16, 0x10000, v8
	s_delay_alu instid0(VALU_DEP_2) | instskip(NEXT) | instid1(VALU_DEP_1)
	v_cmp_eq_u32_e64 s2, 0, v1
	v_cndmask_b32_e64 v1, v16, v8, s2
; %bb.42:
	s_or_b32 exec_lo, exec_lo, s3
	v_and_b32_e32 v8, 0xffff0000, v7
	v_lshlrev_b32_e32 v7, 16, v2
	s_delay_alu instid0(VALU_DEP_1) | instskip(NEXT) | instid1(VALU_DEP_1)
	v_fmac_f32_e32 v8, v7, v15
	v_and_b32_e32 v7, 0x7f800000, v8
	s_delay_alu instid0(VALU_DEP_1) | instskip(NEXT) | instid1(VALU_DEP_1)
	v_cmp_ne_u32_e64 s2, 0x7f800000, v7
                                        ; implicit-def: $vgpr7
	s_and_saveexec_b32 s3, s2
	s_delay_alu instid0(SALU_CYCLE_1)
	s_xor_b32 s2, exec_lo, s3
; %bb.43:
	v_bfe_u32 v7, v8, 16, 1
	s_delay_alu instid0(VALU_DEP_1)
	v_add3_u32 v7, v8, v7, 0x7fff
                                        ; implicit-def: $vgpr8
; %bb.44:
	s_and_not1_saveexec_b32 s3, s2
; %bb.45:
	v_and_b32_e32 v7, 0xffff, v8
	v_or_b32_e32 v15, 0x10000, v8
	s_delay_alu instid0(VALU_DEP_2) | instskip(NEXT) | instid1(VALU_DEP_1)
	v_cmp_eq_u32_e64 s2, 0, v7
	v_cndmask_b32_e64 v7, v15, v8, s2
; %bb.46:
	s_or_b32 exec_lo, exec_lo, s3
	v_and_b32_e32 v8, 0xffff0000, v1
	v_and_b32_e32 v1, 0xffff0000, v2
	s_delay_alu instid0(VALU_DEP_1) | instskip(NEXT) | instid1(VALU_DEP_1)
	v_fmac_f32_e32 v8, v1, v14
	v_and_b32_e32 v1, 0x7f800000, v8
	s_delay_alu instid0(VALU_DEP_1) | instskip(NEXT) | instid1(VALU_DEP_1)
	v_cmp_ne_u32_e64 s2, 0x7f800000, v1
                                        ; implicit-def: $vgpr1
	s_and_saveexec_b32 s3, s2
	s_delay_alu instid0(SALU_CYCLE_1)
	s_xor_b32 s2, exec_lo, s3
; %bb.47:
	v_bfe_u32 v1, v8, 16, 1
	s_delay_alu instid0(VALU_DEP_1)
	v_add3_u32 v1, v8, v1, 0x7fff
                                        ; implicit-def: $vgpr8
; %bb.48:
	s_and_not1_saveexec_b32 s3, s2
; %bb.49:
	v_and_b32_e32 v1, 0xffff, v8
	v_or_b32_e32 v2, 0x10000, v8
	s_delay_alu instid0(VALU_DEP_2) | instskip(NEXT) | instid1(VALU_DEP_1)
	v_cmp_eq_u32_e64 s2, 0, v1
	v_cndmask_b32_e64 v1, v2, v8, s2
; %bb.50:
	s_or_b32 exec_lo, exec_lo, s3
	v_and_b32_e32 v7, 0xffff0000, v7
	v_lshlrev_b32_e32 v2, 16, v3
	s_delay_alu instid0(VALU_DEP_1) | instskip(NEXT) | instid1(VALU_DEP_1)
	v_fmac_f32_e32 v7, v2, v13
	v_and_b32_e32 v2, 0x7f800000, v7
	s_delay_alu instid0(VALU_DEP_1) | instskip(NEXT) | instid1(VALU_DEP_1)
	v_cmp_ne_u32_e64 s2, 0x7f800000, v2
                                        ; implicit-def: $vgpr2
	s_and_saveexec_b32 s3, s2
	s_delay_alu instid0(SALU_CYCLE_1)
	s_xor_b32 s2, exec_lo, s3
; %bb.51:
	v_bfe_u32 v2, v7, 16, 1
	s_delay_alu instid0(VALU_DEP_1)
	v_add3_u32 v2, v7, v2, 0x7fff
                                        ; implicit-def: $vgpr7
; %bb.52:
	s_and_not1_saveexec_b32 s3, s2
; %bb.53:
	v_and_b32_e32 v2, 0xffff, v7
	v_or_b32_e32 v8, 0x10000, v7
	s_delay_alu instid0(VALU_DEP_2) | instskip(NEXT) | instid1(VALU_DEP_1)
	v_cmp_eq_u32_e64 s2, 0, v2
	v_cndmask_b32_e64 v2, v8, v7, s2
; %bb.54:
	s_or_b32 exec_lo, exec_lo, s3
	v_and_b32_e32 v1, 0xffff0000, v1
	v_and_b32_e32 v3, 0xffff0000, v3
	s_delay_alu instid0(VALU_DEP_1) | instskip(NEXT) | instid1(VALU_DEP_1)
	v_fmac_f32_e32 v1, v3, v12
	v_and_b32_e32 v3, 0x7f800000, v1
	s_delay_alu instid0(VALU_DEP_1) | instskip(NEXT) | instid1(VALU_DEP_1)
	v_cmp_ne_u32_e64 s2, 0x7f800000, v3
                                        ; implicit-def: $vgpr3
	s_and_saveexec_b32 s3, s2
	s_delay_alu instid0(SALU_CYCLE_1)
	s_xor_b32 s2, exec_lo, s3
; %bb.55:
	v_bfe_u32 v3, v1, 16, 1
	s_delay_alu instid0(VALU_DEP_1)
	v_add3_u32 v3, v1, v3, 0x7fff
                                        ; implicit-def: $vgpr1
; %bb.56:
	s_and_not1_saveexec_b32 s3, s2
; %bb.57:
	v_and_b32_e32 v3, 0xffff, v1
	v_or_b32_e32 v7, 0x10000, v1
	s_delay_alu instid0(VALU_DEP_2) | instskip(NEXT) | instid1(VALU_DEP_1)
	v_cmp_eq_u32_e64 s2, 0, v3
	v_cndmask_b32_e64 v3, v7, v1, s2
; %bb.58:
	s_or_b32 exec_lo, exec_lo, s3
	v_and_b32_e32 v2, 0xffff0000, v2
	v_lshlrev_b32_e32 v1, 16, v4
	s_delay_alu instid0(VALU_DEP_1) | instskip(NEXT) | instid1(VALU_DEP_1)
	v_fmac_f32_e32 v2, v1, v11
	v_and_b32_e32 v1, 0x7f800000, v2
	s_delay_alu instid0(VALU_DEP_1) | instskip(NEXT) | instid1(VALU_DEP_1)
	v_cmp_ne_u32_e64 s2, 0x7f800000, v1
                                        ; implicit-def: $vgpr1
	s_and_saveexec_b32 s3, s2
	s_delay_alu instid0(SALU_CYCLE_1)
	s_xor_b32 s2, exec_lo, s3
; %bb.59:
	v_bfe_u32 v1, v2, 16, 1
	s_delay_alu instid0(VALU_DEP_1)
	v_add3_u32 v1, v2, v1, 0x7fff
                                        ; implicit-def: $vgpr2
; %bb.60:
	s_and_not1_saveexec_b32 s3, s2
; %bb.61:
	v_and_b32_e32 v1, 0xffff, v2
	v_or_b32_e32 v7, 0x10000, v2
	s_delay_alu instid0(VALU_DEP_2) | instskip(NEXT) | instid1(VALU_DEP_1)
	v_cmp_eq_u32_e64 s2, 0, v1
	v_cndmask_b32_e64 v1, v7, v2, s2
; %bb.62:
	s_or_b32 exec_lo, exec_lo, s3
	v_and_b32_e32 v3, 0xffff0000, v3
	v_and_b32_e32 v2, 0xffff0000, v4
	s_delay_alu instid0(VALU_DEP_1) | instskip(NEXT) | instid1(VALU_DEP_1)
	v_fmac_f32_e32 v3, v2, v10
	v_and_b32_e32 v2, 0x7f800000, v3
	s_delay_alu instid0(VALU_DEP_1) | instskip(NEXT) | instid1(VALU_DEP_1)
	v_cmp_ne_u32_e64 s2, 0x7f800000, v2
                                        ; implicit-def: $vgpr2
	s_and_saveexec_b32 s3, s2
	s_delay_alu instid0(SALU_CYCLE_1)
	s_xor_b32 s2, exec_lo, s3
; %bb.63:
	v_bfe_u32 v2, v3, 16, 1
	s_delay_alu instid0(VALU_DEP_1)
	v_add3_u32 v2, v3, v2, 0x7fff
                                        ; implicit-def: $vgpr3
; %bb.64:
	s_and_not1_saveexec_b32 s3, s2
; %bb.65:
	v_and_b32_e32 v2, 0xffff, v3
	v_or_b32_e32 v4, 0x10000, v3
	s_delay_alu instid0(VALU_DEP_2) | instskip(NEXT) | instid1(VALU_DEP_1)
	v_cmp_eq_u32_e64 s2, 0, v2
	v_cndmask_b32_e64 v2, v4, v3, s2
; %bb.66:
	s_or_b32 exec_lo, exec_lo, s3
	v_mbcnt_lo_u32_b32 v7, -1, 0
	v_and_b32_e32 v4, 0xffff0000, v6
	v_and_b32_e32 v1, 0xffff0000, v1
	;; [unrolled: 1-line block ×4, first 2 shown]
	v_xor_b32_e32 v5, 16, v7
	s_delay_alu instid0(VALU_DEP_2) | instskip(NEXT) | instid1(VALU_DEP_2)
	v_dual_add_f32 v2, v1, v2 :: v_dual_add_f32 v3, v3, v4
	v_cmp_gt_i32_e64 s2, 32, v5
	s_delay_alu instid0(VALU_DEP_2) | instskip(NEXT) | instid1(VALU_DEP_2)
	v_cndmask_b32_e32 v3, 0, v3, vcc_lo
	v_cndmask_b32_e64 v4, v7, v5, s2
	s_mov_b32 s2, exec_lo
	s_delay_alu instid0(VALU_DEP_1) | instskip(SKIP_1) | instid1(VALU_DEP_1)
	v_dual_cndmask_b32 v4, 0, v2 :: v_dual_lshlrev_b32 v1, 2, v4
	v_xor_b32_e32 v2, 8, v7
	v_cmp_gt_i32_e32 vcc_lo, 32, v2
	v_cndmask_b32_e32 v2, v7, v2, vcc_lo
	ds_bpermute_b32 v5, v1, v3
	ds_bpermute_b32 v6, v1, v4
	s_waitcnt lgkmcnt(1)
	v_dual_add_f32 v5, v3, v5 :: v_dual_lshlrev_b32 v2, 2, v2
	v_xor_b32_e32 v3, 4, v7
	s_delay_alu instid0(VALU_DEP_1)
	v_cmp_gt_i32_e32 vcc_lo, 32, v3
	s_waitcnt lgkmcnt(0)
	v_add_f32_e32 v4, v4, v6
	ds_bpermute_b32 v6, v2, v5
	v_cndmask_b32_e32 v3, v7, v3, vcc_lo
	ds_bpermute_b32 v8, v2, v4
	v_lshlrev_b32_e32 v3, 2, v3
	s_waitcnt lgkmcnt(0)
	v_dual_add_f32 v5, v5, v6 :: v_dual_add_f32 v6, v4, v8
	v_xor_b32_e32 v4, 2, v7
	ds_bpermute_b32 v10, v3, v6
	v_cmp_gt_i32_e32 vcc_lo, 32, v4
	v_cndmask_b32_e32 v4, v7, v4, vcc_lo
	ds_bpermute_b32 v8, v3, v5
	s_waitcnt lgkmcnt(1)
	v_add_f32_e32 v6, v6, v10
	s_waitcnt lgkmcnt(0)
	v_add_f32_e32 v8, v5, v8
	v_xor_b32_e32 v5, 1, v7
	s_delay_alu instid0(VALU_DEP_1)
	v_cmp_gt_i32_e32 vcc_lo, 32, v5
	v_dual_cndmask_b32 v5, v7, v5 :: v_dual_lshlrev_b32 v4, 2, v4
	ds_bpermute_b32 v11, v4, v6
	v_lshlrev_b32_e32 v5, 2, v5
	ds_bpermute_b32 v10, v4, v8
	s_waitcnt lgkmcnt(0)
	v_dual_add_f32 v7, v8, v10 :: v_dual_add_f32 v8, v6, v11
	v_and_b32_e32 v6, 31, v0
	ds_bpermute_b32 v10, v5, v7
	ds_bpermute_b32 v11, v5, v8
	v_cmpx_gt_u32_e32 2, v6
	s_cbranch_execz .LBB4_68
; %bb.67:
	v_lshrrev_b32_e32 v12, 3, v0
	s_waitcnt lgkmcnt(0)
	v_add_f32_e32 v8, v8, v11
	v_cmp_eq_u32_e32 vcc_lo, 1, v6
	s_delay_alu instid0(VALU_DEP_3) | instskip(NEXT) | instid1(VALU_DEP_1)
	v_dual_add_f32 v7, v7, v10 :: v_dual_and_b32 v12, 0x7c, v12
	v_cndmask_b32_e32 v7, v7, v8, vcc_lo
	s_delay_alu instid0(VALU_DEP_2)
	v_lshl_or_b32 v10, v6, 7, v12
	ds_store_b32 v10, v7
.LBB4_68:
	s_or_b32 exec_lo, exec_lo, s2
	s_waitcnt lgkmcnt(0)
	s_barrier
	buffer_gl0_inv
	s_mov_b32 s2, exec_lo
	v_cmpx_gt_u32_e32 32, v0
	s_cbranch_execz .LBB4_81
; %bb.69:
	s_load_b32 s0, s[0:1], 0x2c
	v_dual_mov_b32 v0, 0 :: v_dual_and_b32 v7, 15, v0
	s_waitcnt lgkmcnt(0)
	s_and_b32 s0, 0xffff, s0
	s_delay_alu instid0(SALU_CYCLE_1)
	s_lshr_b32 s0, s0, 5
	s_delay_alu instid0(VALU_DEP_1) | instid1(SALU_CYCLE_1)
	v_cmp_gt_u32_e32 vcc_lo, s0, v7
	s_and_saveexec_b32 s0, vcc_lo
	s_cbranch_execz .LBB4_71
; %bb.70:
	v_lshlrev_b32_e32 v0, 2, v7
	s_delay_alu instid0(VALU_DEP_1)
	v_and_or_b32 v0, 0x1f80, v9, v0
	ds_load_b32 v0, v0
.LBB4_71:
	s_or_b32 exec_lo, exec_lo, s0
	s_waitcnt lgkmcnt(0)
	ds_bpermute_b32 v2, v2, v0
	v_cmp_eq_u32_e32 vcc_lo, 0, v6
	s_waitcnt lgkmcnt(0)
	v_add_f32_e32 v0, v0, v2
	ds_bpermute_b32 v2, v3, v0
	s_waitcnt lgkmcnt(0)
	v_add_f32_e32 v0, v0, v2
	ds_bpermute_b32 v2, v4, v0
	;; [unrolled: 3-line block ×4, first 2 shown]
	s_and_b32 exec_lo, exec_lo, vcc_lo
	s_cbranch_execz .LBB4_81
; %bb.72:
	v_and_b32_e32 v0, 0x7f800000, v2
	s_delay_alu instid0(VALU_DEP_1) | instskip(SKIP_1) | instid1(SALU_CYCLE_1)
	v_cmp_ne_u32_e32 vcc_lo, 0x7f800000, v0
                                        ; implicit-def: $vgpr0
	s_and_saveexec_b32 s0, vcc_lo
	s_xor_b32 s0, exec_lo, s0
; %bb.73:
	v_bfe_u32 v0, v2, 16, 1
	s_delay_alu instid0(VALU_DEP_1)
	v_add3_u32 v0, v2, v0, 0x7fff
                                        ; implicit-def: $vgpr2
; %bb.74:
	s_and_not1_saveexec_b32 s0, s0
; %bb.75:
	v_and_b32_e32 v0, 0xffff, v2
	v_or_b32_e32 v3, 0x10000, v2
	s_delay_alu instid0(VALU_DEP_2) | instskip(NEXT) | instid1(VALU_DEP_2)
	v_cmp_eq_u32_e32 vcc_lo, 0, v0
	v_cndmask_b32_e32 v0, v3, v2, vcc_lo
; %bb.76:
	s_or_b32 exec_lo, exec_lo, s0
	s_waitcnt lgkmcnt(0)
	v_and_b32_e32 v2, 0x7f800000, v1
	s_delay_alu instid0(VALU_DEP_1) | instskip(SKIP_1) | instid1(SALU_CYCLE_1)
	v_cmp_ne_u32_e32 vcc_lo, 0x7f800000, v2
                                        ; implicit-def: $vgpr2
	s_and_saveexec_b32 s0, vcc_lo
	s_xor_b32 s0, exec_lo, s0
; %bb.77:
	v_bfe_u32 v2, v1, 16, 1
	s_delay_alu instid0(VALU_DEP_1)
	v_add3_u32 v2, v1, v2, 0x7fff
                                        ; implicit-def: $vgpr1
; %bb.78:
	s_and_not1_saveexec_b32 s0, s0
; %bb.79:
	v_and_b32_e32 v2, 0xffff, v1
	v_or_b32_e32 v3, 0x10000, v1
	s_delay_alu instid0(VALU_DEP_2) | instskip(NEXT) | instid1(VALU_DEP_2)
	v_cmp_eq_u32_e32 vcc_lo, 0, v2
	v_cndmask_b32_e32 v2, v3, v1, vcc_lo
; %bb.80:
	s_or_b32 exec_lo, exec_lo, s0
	s_and_b32 s0, s15, 0x7fffffff
	s_mov_b32 s1, 0
	v_mov_b32_e32 v1, 0
	s_lshl_b64 s[0:1], s[0:1], 2
	v_perm_b32 v0, v2, v0, 0x7060302
	s_add_u32 s0, s8, s0
	s_addc_u32 s1, s9, s1
	global_store_b32 v1, v0, s[0:1]
.LBB4_81:
	s_nop 0
	s_sendmsg sendmsg(MSG_DEALLOC_VGPRS)
	s_endpgm
	.section	.rodata,"a",@progbits
	.p2align	6, 0x0
	.amdhsa_kernel _Z14LLGemm1_kernelIN3c108BFloat16ELi2EEvPKT_S4_PS2_i
		.amdhsa_group_segment_fixed_size 256
		.amdhsa_private_segment_fixed_size 0
		.amdhsa_kernarg_size 288
		.amdhsa_user_sgpr_count 15
		.amdhsa_user_sgpr_dispatch_ptr 0
		.amdhsa_user_sgpr_queue_ptr 0
		.amdhsa_user_sgpr_kernarg_segment_ptr 1
		.amdhsa_user_sgpr_dispatch_id 0
		.amdhsa_user_sgpr_private_segment_size 0
		.amdhsa_wavefront_size32 1
		.amdhsa_uses_dynamic_stack 0
		.amdhsa_enable_private_segment 0
		.amdhsa_system_sgpr_workgroup_id_x 1
		.amdhsa_system_sgpr_workgroup_id_y 0
		.amdhsa_system_sgpr_workgroup_id_z 0
		.amdhsa_system_sgpr_workgroup_info 0
		.amdhsa_system_vgpr_workitem_id 0
		.amdhsa_next_free_vgpr 21
		.amdhsa_next_free_sgpr 16
		.amdhsa_reserve_vcc 1
		.amdhsa_float_round_mode_32 0
		.amdhsa_float_round_mode_16_64 0
		.amdhsa_float_denorm_mode_32 3
		.amdhsa_float_denorm_mode_16_64 3
		.amdhsa_dx10_clamp 1
		.amdhsa_ieee_mode 1
		.amdhsa_fp16_overflow 0
		.amdhsa_workgroup_processor_mode 1
		.amdhsa_memory_ordered 1
		.amdhsa_forward_progress 0
		.amdhsa_shared_vgpr_count 0
		.amdhsa_exception_fp_ieee_invalid_op 0
		.amdhsa_exception_fp_denorm_src 0
		.amdhsa_exception_fp_ieee_div_zero 0
		.amdhsa_exception_fp_ieee_overflow 0
		.amdhsa_exception_fp_ieee_underflow 0
		.amdhsa_exception_fp_ieee_inexact 0
		.amdhsa_exception_int_div_zero 0
	.end_amdhsa_kernel
	.section	.text._Z14LLGemm1_kernelIN3c108BFloat16ELi2EEvPKT_S4_PS2_i,"axG",@progbits,_Z14LLGemm1_kernelIN3c108BFloat16ELi2EEvPKT_S4_PS2_i,comdat
.Lfunc_end4:
	.size	_Z14LLGemm1_kernelIN3c108BFloat16ELi2EEvPKT_S4_PS2_i, .Lfunc_end4-_Z14LLGemm1_kernelIN3c108BFloat16ELi2EEvPKT_S4_PS2_i
                                        ; -- End function
	.section	.AMDGPU.csdata,"",@progbits
; Kernel info:
; codeLenInByte = 3064
; NumSgprs: 18
; NumVgprs: 21
; ScratchSize: 0
; MemoryBound: 0
; FloatMode: 240
; IeeeMode: 1
; LDSByteSize: 256 bytes/workgroup (compile time only)
; SGPRBlocks: 2
; VGPRBlocks: 2
; NumSGPRsForWavesPerEU: 18
; NumVGPRsForWavesPerEU: 21
; Occupancy: 16
; WaveLimiterHint : 0
; COMPUTE_PGM_RSRC2:SCRATCH_EN: 0
; COMPUTE_PGM_RSRC2:USER_SGPR: 15
; COMPUTE_PGM_RSRC2:TRAP_HANDLER: 0
; COMPUTE_PGM_RSRC2:TGID_X_EN: 1
; COMPUTE_PGM_RSRC2:TGID_Y_EN: 0
; COMPUTE_PGM_RSRC2:TGID_Z_EN: 0
; COMPUTE_PGM_RSRC2:TIDIG_COMP_CNT: 0
	.section	.text._Z14LLGemm1_kernelIN3c108BFloat16ELi4EEvPKT_S4_PS2_i,"axG",@progbits,_Z14LLGemm1_kernelIN3c108BFloat16ELi4EEvPKT_S4_PS2_i,comdat
	.protected	_Z14LLGemm1_kernelIN3c108BFloat16ELi4EEvPKT_S4_PS2_i ; -- Begin function _Z14LLGemm1_kernelIN3c108BFloat16ELi4EEvPKT_S4_PS2_i
	.globl	_Z14LLGemm1_kernelIN3c108BFloat16ELi4EEvPKT_S4_PS2_i
	.p2align	8
	.type	_Z14LLGemm1_kernelIN3c108BFloat16ELi4EEvPKT_S4_PS2_i,@function
_Z14LLGemm1_kernelIN3c108BFloat16ELi4EEvPKT_S4_PS2_i: ; @_Z14LLGemm1_kernelIN3c108BFloat16ELi4EEvPKT_S4_PS2_i
; %bb.0:
	s_clause 0x2
	s_load_b32 s2, s[0:1], 0x18
	s_load_b128 s[4:7], s[0:1], 0x0
	s_load_b64 s[8:9], s[0:1], 0x10
	v_dual_mov_b32 v22, 0 :: v_dual_lshlrev_b32 v17, 3, v0
	v_dual_mov_b32 v19, 0 :: v_dual_mov_b32 v18, 0
	v_dual_mov_b32 v21, 0 :: v_dual_mov_b32 v20, 0
	;; [unrolled: 1-line block ×3, first 2 shown]
	v_mov_b32_e32 v25, 0
	s_mov_b32 s3, 0
                                        ; implicit-def: $vgpr1
                                        ; implicit-def: $vgpr5
                                        ; implicit-def: $vgpr9
                                        ; implicit-def: $vgpr13
	s_waitcnt lgkmcnt(0)
	v_cmp_gt_i32_e32 vcc_lo, s2, v17
	s_and_saveexec_b32 s10, vcc_lo
	s_cbranch_execz .LBB5_2
; %bb.1:
	s_mul_i32 s11, s15, s2
	s_lshr_b32 s2, s2, 3
	s_bfe_u32 s11, s11, 0x1d0001
	s_delay_alu instid0(SALU_CYCLE_1) | instskip(SKIP_2) | instid1(VALU_DEP_2)
	v_dual_mov_b32 v2, 0 :: v_dual_add_nc_u32 v1, s11, v0
	v_lshlrev_b32_e32 v5, 4, v0
	s_lshl_b64 s[12:13], s[2:3], 4
	v_lshlrev_b64 v[3:4], 4, v[1:2]
	v_add3_u32 v1, s2, s2, v1
	global_load_b128 v[25:28], v5, s[6:7]
	v_lshlrev_b64 v[5:6], 4, v[1:2]
	v_add_nc_u32_e32 v1, s2, v1
	v_add_co_u32 v3, s2, s4, v3
	s_delay_alu instid0(VALU_DEP_1) | instskip(NEXT) | instid1(VALU_DEP_3)
	v_add_co_ci_u32_e64 v4, s2, s5, v4, s2
	v_lshlrev_b64 v[1:2], 4, v[1:2]
	s_delay_alu instid0(VALU_DEP_3) | instskip(NEXT) | instid1(VALU_DEP_1)
	v_add_co_u32 v7, s2, v3, s12
	v_add_co_ci_u32_e64 v8, s2, s13, v4, s2
	v_add_co_u32 v5, s2, s4, v5
	s_delay_alu instid0(VALU_DEP_1) | instskip(SKIP_1) | instid1(VALU_DEP_1)
	v_add_co_ci_u32_e64 v6, s2, s5, v6, s2
	v_add_co_u32 v1, s2, s4, v1
	v_add_co_ci_u32_e64 v2, s2, s5, v2, s2
	s_clause 0x3
	global_load_b128 v[13:16], v[3:4], off slc dlc
	global_load_b128 v[9:12], v[7:8], off slc dlc
	;; [unrolled: 1-line block ×4, first 2 shown]
	s_waitcnt vmcnt(4)
	v_and_b32_e32 v24, 0xffff0000, v25
	v_lshlrev_b32_e32 v25, 16, v25
	v_and_b32_e32 v22, 0xffff0000, v26
	v_lshlrev_b32_e32 v23, 16, v26
	;; [unrolled: 2-line block ×4, first 2 shown]
.LBB5_2:
	s_or_b32 exec_lo, exec_lo, s10
	s_waitcnt vmcnt(3)
	v_lshlrev_b32_e32 v26, 16, v13
	s_delay_alu instid0(VALU_DEP_1) | instskip(NEXT) | instid1(VALU_DEP_1)
	v_mul_f32_e32 v27, v25, v26
	v_and_b32_e32 v26, 0x7f800000, v27
	s_delay_alu instid0(VALU_DEP_1) | instskip(NEXT) | instid1(VALU_DEP_1)
	v_cmp_ne_u32_e64 s2, 0x7f800000, v26
                                        ; implicit-def: $vgpr26
	s_and_saveexec_b32 s3, s2
	s_delay_alu instid0(SALU_CYCLE_1)
	s_xor_b32 s2, exec_lo, s3
; %bb.3:
	v_bfe_u32 v26, v27, 16, 1
	s_delay_alu instid0(VALU_DEP_1)
	v_add3_u32 v26, v27, v26, 0x7fff
                                        ; implicit-def: $vgpr27
; %bb.4:
	s_and_not1_saveexec_b32 s3, s2
; %bb.5:
	v_and_b32_e32 v26, 0xffff, v27
	v_or_b32_e32 v28, 0x10000, v27
	s_delay_alu instid0(VALU_DEP_2) | instskip(NEXT) | instid1(VALU_DEP_1)
	v_cmp_eq_u32_e64 s2, 0, v26
	v_cndmask_b32_e64 v26, v28, v27, s2
; %bb.6:
	s_or_b32 exec_lo, exec_lo, s3
	v_and_b32_e32 v13, 0xffff0000, v13
	s_delay_alu instid0(VALU_DEP_1) | instskip(NEXT) | instid1(VALU_DEP_1)
	v_mul_f32_e32 v27, v24, v13
	v_and_b32_e32 v13, 0x7f800000, v27
	s_delay_alu instid0(VALU_DEP_1) | instskip(NEXT) | instid1(VALU_DEP_1)
	v_cmp_ne_u32_e64 s2, 0x7f800000, v13
                                        ; implicit-def: $vgpr13
	s_and_saveexec_b32 s3, s2
	s_delay_alu instid0(SALU_CYCLE_1)
	s_xor_b32 s2, exec_lo, s3
; %bb.7:
	v_bfe_u32 v13, v27, 16, 1
	s_delay_alu instid0(VALU_DEP_1)
	v_add3_u32 v13, v27, v13, 0x7fff
                                        ; implicit-def: $vgpr27
; %bb.8:
	s_and_not1_saveexec_b32 s3, s2
; %bb.9:
	v_and_b32_e32 v13, 0xffff, v27
	v_or_b32_e32 v28, 0x10000, v27
	s_delay_alu instid0(VALU_DEP_2) | instskip(NEXT) | instid1(VALU_DEP_1)
	v_cmp_eq_u32_e64 s2, 0, v13
	v_cndmask_b32_e64 v13, v28, v27, s2
; %bb.10:
	s_or_b32 exec_lo, exec_lo, s3
	v_and_b32_e32 v27, 0xffff0000, v26
	v_lshlrev_b32_e32 v26, 16, v14
	s_delay_alu instid0(VALU_DEP_1) | instskip(NEXT) | instid1(VALU_DEP_1)
	v_fmac_f32_e32 v27, v26, v23
	v_and_b32_e32 v26, 0x7f800000, v27
	s_delay_alu instid0(VALU_DEP_1) | instskip(NEXT) | instid1(VALU_DEP_1)
	v_cmp_ne_u32_e64 s2, 0x7f800000, v26
                                        ; implicit-def: $vgpr26
	s_and_saveexec_b32 s3, s2
	s_delay_alu instid0(SALU_CYCLE_1)
	s_xor_b32 s2, exec_lo, s3
; %bb.11:
	v_bfe_u32 v26, v27, 16, 1
	s_delay_alu instid0(VALU_DEP_1)
	v_add3_u32 v26, v27, v26, 0x7fff
                                        ; implicit-def: $vgpr27
; %bb.12:
	s_and_not1_saveexec_b32 s3, s2
; %bb.13:
	v_and_b32_e32 v26, 0xffff, v27
	v_or_b32_e32 v28, 0x10000, v27
	s_delay_alu instid0(VALU_DEP_2) | instskip(NEXT) | instid1(VALU_DEP_1)
	v_cmp_eq_u32_e64 s2, 0, v26
	v_cndmask_b32_e64 v26, v28, v27, s2
; %bb.14:
	s_or_b32 exec_lo, exec_lo, s3
	v_and_b32_e32 v27, 0xffff0000, v13
	v_and_b32_e32 v13, 0xffff0000, v14
	s_delay_alu instid0(VALU_DEP_1) | instskip(NEXT) | instid1(VALU_DEP_1)
	v_fmac_f32_e32 v27, v13, v22
	v_and_b32_e32 v13, 0x7f800000, v27
	s_delay_alu instid0(VALU_DEP_1) | instskip(NEXT) | instid1(VALU_DEP_1)
	v_cmp_ne_u32_e64 s2, 0x7f800000, v13
                                        ; implicit-def: $vgpr13
	s_and_saveexec_b32 s3, s2
	s_delay_alu instid0(SALU_CYCLE_1)
	s_xor_b32 s2, exec_lo, s3
; %bb.15:
	v_bfe_u32 v13, v27, 16, 1
	s_delay_alu instid0(VALU_DEP_1)
	v_add3_u32 v13, v27, v13, 0x7fff
                                        ; implicit-def: $vgpr27
; %bb.16:
	s_and_not1_saveexec_b32 s3, s2
; %bb.17:
	v_and_b32_e32 v13, 0xffff, v27
	v_or_b32_e32 v14, 0x10000, v27
	s_delay_alu instid0(VALU_DEP_2) | instskip(NEXT) | instid1(VALU_DEP_1)
	v_cmp_eq_u32_e64 s2, 0, v13
	v_cndmask_b32_e64 v13, v14, v27, s2
; %bb.18:
	s_or_b32 exec_lo, exec_lo, s3
	v_and_b32_e32 v26, 0xffff0000, v26
	v_lshlrev_b32_e32 v14, 16, v15
	s_delay_alu instid0(VALU_DEP_1) | instskip(NEXT) | instid1(VALU_DEP_1)
	v_fmac_f32_e32 v26, v14, v21
	v_and_b32_e32 v14, 0x7f800000, v26
	s_delay_alu instid0(VALU_DEP_1) | instskip(NEXT) | instid1(VALU_DEP_1)
	v_cmp_ne_u32_e64 s2, 0x7f800000, v14
                                        ; implicit-def: $vgpr14
	s_and_saveexec_b32 s3, s2
	s_delay_alu instid0(SALU_CYCLE_1)
	s_xor_b32 s2, exec_lo, s3
; %bb.19:
	v_bfe_u32 v14, v26, 16, 1
	s_delay_alu instid0(VALU_DEP_1)
	v_add3_u32 v14, v26, v14, 0x7fff
                                        ; implicit-def: $vgpr26
; %bb.20:
	s_and_not1_saveexec_b32 s3, s2
; %bb.21:
	v_and_b32_e32 v14, 0xffff, v26
	v_or_b32_e32 v27, 0x10000, v26
	s_delay_alu instid0(VALU_DEP_2) | instskip(NEXT) | instid1(VALU_DEP_1)
	v_cmp_eq_u32_e64 s2, 0, v14
	v_cndmask_b32_e64 v14, v27, v26, s2
; %bb.22:
	s_or_b32 exec_lo, exec_lo, s3
	v_and_b32_e32 v13, 0xffff0000, v13
	v_and_b32_e32 v15, 0xffff0000, v15
	s_delay_alu instid0(VALU_DEP_1) | instskip(NEXT) | instid1(VALU_DEP_1)
	v_fmac_f32_e32 v13, v15, v20
	v_and_b32_e32 v15, 0x7f800000, v13
	s_delay_alu instid0(VALU_DEP_1) | instskip(NEXT) | instid1(VALU_DEP_1)
	v_cmp_ne_u32_e64 s2, 0x7f800000, v15
                                        ; implicit-def: $vgpr15
	s_and_saveexec_b32 s3, s2
	s_delay_alu instid0(SALU_CYCLE_1)
	s_xor_b32 s2, exec_lo, s3
; %bb.23:
	v_bfe_u32 v15, v13, 16, 1
	s_delay_alu instid0(VALU_DEP_1)
	v_add3_u32 v15, v13, v15, 0x7fff
                                        ; implicit-def: $vgpr13
; %bb.24:
	s_and_not1_saveexec_b32 s3, s2
; %bb.25:
	v_and_b32_e32 v15, 0xffff, v13
	v_or_b32_e32 v26, 0x10000, v13
	s_delay_alu instid0(VALU_DEP_2) | instskip(NEXT) | instid1(VALU_DEP_1)
	v_cmp_eq_u32_e64 s2, 0, v15
	v_cndmask_b32_e64 v15, v26, v13, s2
; %bb.26:
	s_or_b32 exec_lo, exec_lo, s3
	v_and_b32_e32 v14, 0xffff0000, v14
	v_lshlrev_b32_e32 v13, 16, v16
	s_delay_alu instid0(VALU_DEP_1) | instskip(NEXT) | instid1(VALU_DEP_1)
	v_fmac_f32_e32 v14, v13, v19
	v_and_b32_e32 v13, 0x7f800000, v14
	s_delay_alu instid0(VALU_DEP_1) | instskip(NEXT) | instid1(VALU_DEP_1)
	v_cmp_ne_u32_e64 s2, 0x7f800000, v13
                                        ; implicit-def: $vgpr13
	s_and_saveexec_b32 s3, s2
	s_delay_alu instid0(SALU_CYCLE_1)
	s_xor_b32 s2, exec_lo, s3
; %bb.27:
	v_bfe_u32 v13, v14, 16, 1
	s_delay_alu instid0(VALU_DEP_1)
	v_add3_u32 v13, v14, v13, 0x7fff
                                        ; implicit-def: $vgpr14
; %bb.28:
	s_and_not1_saveexec_b32 s3, s2
; %bb.29:
	v_and_b32_e32 v13, 0xffff, v14
	v_or_b32_e32 v26, 0x10000, v14
	s_delay_alu instid0(VALU_DEP_2) | instskip(NEXT) | instid1(VALU_DEP_1)
	v_cmp_eq_u32_e64 s2, 0, v13
	v_cndmask_b32_e64 v13, v26, v14, s2
; %bb.30:
	s_or_b32 exec_lo, exec_lo, s3
	v_and_b32_e32 v15, 0xffff0000, v15
	v_and_b32_e32 v14, 0xffff0000, v16
	s_delay_alu instid0(VALU_DEP_1) | instskip(NEXT) | instid1(VALU_DEP_1)
	v_fmac_f32_e32 v15, v14, v18
	v_and_b32_e32 v14, 0x7f800000, v15
	s_delay_alu instid0(VALU_DEP_1) | instskip(NEXT) | instid1(VALU_DEP_1)
	v_cmp_ne_u32_e64 s2, 0x7f800000, v14
                                        ; implicit-def: $vgpr14
	s_and_saveexec_b32 s3, s2
	s_delay_alu instid0(SALU_CYCLE_1)
	s_xor_b32 s2, exec_lo, s3
; %bb.31:
	v_bfe_u32 v14, v15, 16, 1
	s_delay_alu instid0(VALU_DEP_1)
	v_add3_u32 v14, v15, v14, 0x7fff
                                        ; implicit-def: $vgpr15
; %bb.32:
	s_and_not1_saveexec_b32 s3, s2
; %bb.33:
	v_and_b32_e32 v14, 0xffff, v15
	v_or_b32_e32 v16, 0x10000, v15
	s_delay_alu instid0(VALU_DEP_2) | instskip(NEXT) | instid1(VALU_DEP_1)
	v_cmp_eq_u32_e64 s2, 0, v14
	v_cndmask_b32_e64 v14, v16, v15, s2
; %bb.34:
	s_or_b32 exec_lo, exec_lo, s3
	s_waitcnt vmcnt(2)
	v_lshlrev_b32_e32 v15, 16, v9
	s_delay_alu instid0(VALU_DEP_1) | instskip(NEXT) | instid1(VALU_DEP_1)
	v_mul_f32_e32 v16, v25, v15
	v_and_b32_e32 v15, 0x7f800000, v16
	s_delay_alu instid0(VALU_DEP_1) | instskip(NEXT) | instid1(VALU_DEP_1)
	v_cmp_ne_u32_e64 s2, 0x7f800000, v15
                                        ; implicit-def: $vgpr15
	s_and_saveexec_b32 s3, s2
	s_delay_alu instid0(SALU_CYCLE_1)
	s_xor_b32 s2, exec_lo, s3
; %bb.35:
	v_bfe_u32 v15, v16, 16, 1
	s_delay_alu instid0(VALU_DEP_1)
	v_add3_u32 v15, v16, v15, 0x7fff
                                        ; implicit-def: $vgpr16
; %bb.36:
	s_and_not1_saveexec_b32 s3, s2
; %bb.37:
	v_and_b32_e32 v15, 0xffff, v16
	v_or_b32_e32 v26, 0x10000, v16
	s_delay_alu instid0(VALU_DEP_2) | instskip(NEXT) | instid1(VALU_DEP_1)
	v_cmp_eq_u32_e64 s2, 0, v15
	v_cndmask_b32_e64 v15, v26, v16, s2
; %bb.38:
	s_or_b32 exec_lo, exec_lo, s3
	v_and_b32_e32 v9, 0xffff0000, v9
	s_delay_alu instid0(VALU_DEP_1) | instskip(NEXT) | instid1(VALU_DEP_1)
	v_mul_f32_e32 v16, v24, v9
	v_and_b32_e32 v9, 0x7f800000, v16
	s_delay_alu instid0(VALU_DEP_1) | instskip(NEXT) | instid1(VALU_DEP_1)
	v_cmp_ne_u32_e64 s2, 0x7f800000, v9
                                        ; implicit-def: $vgpr9
	s_and_saveexec_b32 s3, s2
	s_delay_alu instid0(SALU_CYCLE_1)
	s_xor_b32 s2, exec_lo, s3
; %bb.39:
	v_bfe_u32 v9, v16, 16, 1
	s_delay_alu instid0(VALU_DEP_1)
	v_add3_u32 v9, v16, v9, 0x7fff
                                        ; implicit-def: $vgpr16
; %bb.40:
	s_and_not1_saveexec_b32 s3, s2
; %bb.41:
	v_and_b32_e32 v9, 0xffff, v16
	v_or_b32_e32 v26, 0x10000, v16
	s_delay_alu instid0(VALU_DEP_2) | instskip(NEXT) | instid1(VALU_DEP_1)
	v_cmp_eq_u32_e64 s2, 0, v9
	v_cndmask_b32_e64 v9, v26, v16, s2
; %bb.42:
	s_or_b32 exec_lo, exec_lo, s3
	v_and_b32_e32 v16, 0xffff0000, v15
	v_lshlrev_b32_e32 v15, 16, v10
	s_delay_alu instid0(VALU_DEP_1) | instskip(NEXT) | instid1(VALU_DEP_1)
	v_fmac_f32_e32 v16, v15, v23
	v_and_b32_e32 v15, 0x7f800000, v16
	s_delay_alu instid0(VALU_DEP_1) | instskip(NEXT) | instid1(VALU_DEP_1)
	v_cmp_ne_u32_e64 s2, 0x7f800000, v15
                                        ; implicit-def: $vgpr15
	s_and_saveexec_b32 s3, s2
	s_delay_alu instid0(SALU_CYCLE_1)
	s_xor_b32 s2, exec_lo, s3
; %bb.43:
	v_bfe_u32 v15, v16, 16, 1
	s_delay_alu instid0(VALU_DEP_1)
	v_add3_u32 v15, v16, v15, 0x7fff
                                        ; implicit-def: $vgpr16
; %bb.44:
	s_and_not1_saveexec_b32 s3, s2
; %bb.45:
	v_and_b32_e32 v15, 0xffff, v16
	v_or_b32_e32 v26, 0x10000, v16
	s_delay_alu instid0(VALU_DEP_2) | instskip(NEXT) | instid1(VALU_DEP_1)
	v_cmp_eq_u32_e64 s2, 0, v15
	v_cndmask_b32_e64 v15, v26, v16, s2
; %bb.46:
	s_or_b32 exec_lo, exec_lo, s3
	v_and_b32_e32 v16, 0xffff0000, v9
	v_and_b32_e32 v9, 0xffff0000, v10
	s_delay_alu instid0(VALU_DEP_1) | instskip(NEXT) | instid1(VALU_DEP_1)
	v_fmac_f32_e32 v16, v9, v22
	v_and_b32_e32 v9, 0x7f800000, v16
	s_delay_alu instid0(VALU_DEP_1) | instskip(NEXT) | instid1(VALU_DEP_1)
	v_cmp_ne_u32_e64 s2, 0x7f800000, v9
                                        ; implicit-def: $vgpr9
	s_and_saveexec_b32 s3, s2
	s_delay_alu instid0(SALU_CYCLE_1)
	s_xor_b32 s2, exec_lo, s3
; %bb.47:
	v_bfe_u32 v9, v16, 16, 1
	s_delay_alu instid0(VALU_DEP_1)
	v_add3_u32 v9, v16, v9, 0x7fff
                                        ; implicit-def: $vgpr16
; %bb.48:
	s_and_not1_saveexec_b32 s3, s2
; %bb.49:
	v_and_b32_e32 v9, 0xffff, v16
	v_or_b32_e32 v10, 0x10000, v16
	s_delay_alu instid0(VALU_DEP_2) | instskip(NEXT) | instid1(VALU_DEP_1)
	v_cmp_eq_u32_e64 s2, 0, v9
	v_cndmask_b32_e64 v9, v10, v16, s2
; %bb.50:
	s_or_b32 exec_lo, exec_lo, s3
	v_and_b32_e32 v15, 0xffff0000, v15
	v_lshlrev_b32_e32 v10, 16, v11
	s_delay_alu instid0(VALU_DEP_1) | instskip(NEXT) | instid1(VALU_DEP_1)
	v_fmac_f32_e32 v15, v10, v21
	v_and_b32_e32 v10, 0x7f800000, v15
	s_delay_alu instid0(VALU_DEP_1) | instskip(NEXT) | instid1(VALU_DEP_1)
	v_cmp_ne_u32_e64 s2, 0x7f800000, v10
                                        ; implicit-def: $vgpr10
	s_and_saveexec_b32 s3, s2
	s_delay_alu instid0(SALU_CYCLE_1)
	s_xor_b32 s2, exec_lo, s3
; %bb.51:
	v_bfe_u32 v10, v15, 16, 1
	s_delay_alu instid0(VALU_DEP_1)
	v_add3_u32 v10, v15, v10, 0x7fff
                                        ; implicit-def: $vgpr15
; %bb.52:
	s_and_not1_saveexec_b32 s3, s2
; %bb.53:
	v_and_b32_e32 v10, 0xffff, v15
	v_or_b32_e32 v16, 0x10000, v15
	s_delay_alu instid0(VALU_DEP_2) | instskip(NEXT) | instid1(VALU_DEP_1)
	v_cmp_eq_u32_e64 s2, 0, v10
	v_cndmask_b32_e64 v10, v16, v15, s2
; %bb.54:
	s_or_b32 exec_lo, exec_lo, s3
	v_and_b32_e32 v9, 0xffff0000, v9
	v_and_b32_e32 v11, 0xffff0000, v11
	s_delay_alu instid0(VALU_DEP_1) | instskip(NEXT) | instid1(VALU_DEP_1)
	v_fmac_f32_e32 v9, v11, v20
	v_and_b32_e32 v11, 0x7f800000, v9
	s_delay_alu instid0(VALU_DEP_1) | instskip(NEXT) | instid1(VALU_DEP_1)
	v_cmp_ne_u32_e64 s2, 0x7f800000, v11
                                        ; implicit-def: $vgpr11
	s_and_saveexec_b32 s3, s2
	s_delay_alu instid0(SALU_CYCLE_1)
	s_xor_b32 s2, exec_lo, s3
; %bb.55:
	v_bfe_u32 v11, v9, 16, 1
	s_delay_alu instid0(VALU_DEP_1)
	v_add3_u32 v11, v9, v11, 0x7fff
                                        ; implicit-def: $vgpr9
; %bb.56:
	s_and_not1_saveexec_b32 s3, s2
; %bb.57:
	v_and_b32_e32 v11, 0xffff, v9
	v_or_b32_e32 v15, 0x10000, v9
	s_delay_alu instid0(VALU_DEP_2) | instskip(NEXT) | instid1(VALU_DEP_1)
	v_cmp_eq_u32_e64 s2, 0, v11
	v_cndmask_b32_e64 v11, v15, v9, s2
; %bb.58:
	s_or_b32 exec_lo, exec_lo, s3
	v_and_b32_e32 v10, 0xffff0000, v10
	v_lshlrev_b32_e32 v9, 16, v12
	s_delay_alu instid0(VALU_DEP_1) | instskip(NEXT) | instid1(VALU_DEP_1)
	v_fmac_f32_e32 v10, v9, v19
	v_and_b32_e32 v9, 0x7f800000, v10
	s_delay_alu instid0(VALU_DEP_1) | instskip(NEXT) | instid1(VALU_DEP_1)
	v_cmp_ne_u32_e64 s2, 0x7f800000, v9
                                        ; implicit-def: $vgpr9
	s_and_saveexec_b32 s3, s2
	s_delay_alu instid0(SALU_CYCLE_1)
	s_xor_b32 s2, exec_lo, s3
; %bb.59:
	v_bfe_u32 v9, v10, 16, 1
	s_delay_alu instid0(VALU_DEP_1)
	v_add3_u32 v9, v10, v9, 0x7fff
                                        ; implicit-def: $vgpr10
; %bb.60:
	s_and_not1_saveexec_b32 s3, s2
; %bb.61:
	v_and_b32_e32 v9, 0xffff, v10
	v_or_b32_e32 v15, 0x10000, v10
	s_delay_alu instid0(VALU_DEP_2) | instskip(NEXT) | instid1(VALU_DEP_1)
	v_cmp_eq_u32_e64 s2, 0, v9
	v_cndmask_b32_e64 v9, v15, v10, s2
; %bb.62:
	s_or_b32 exec_lo, exec_lo, s3
	v_and_b32_e32 v11, 0xffff0000, v11
	v_and_b32_e32 v10, 0xffff0000, v12
	s_delay_alu instid0(VALU_DEP_1) | instskip(NEXT) | instid1(VALU_DEP_1)
	v_fmac_f32_e32 v11, v10, v18
	v_and_b32_e32 v10, 0x7f800000, v11
	s_delay_alu instid0(VALU_DEP_1) | instskip(NEXT) | instid1(VALU_DEP_1)
	v_cmp_ne_u32_e64 s2, 0x7f800000, v10
                                        ; implicit-def: $vgpr10
	s_and_saveexec_b32 s3, s2
	s_delay_alu instid0(SALU_CYCLE_1)
	s_xor_b32 s2, exec_lo, s3
; %bb.63:
	v_bfe_u32 v10, v11, 16, 1
	s_delay_alu instid0(VALU_DEP_1)
	v_add3_u32 v10, v11, v10, 0x7fff
                                        ; implicit-def: $vgpr11
; %bb.64:
	s_and_not1_saveexec_b32 s3, s2
; %bb.65:
	v_and_b32_e32 v10, 0xffff, v11
	v_or_b32_e32 v12, 0x10000, v11
	s_delay_alu instid0(VALU_DEP_2) | instskip(NEXT) | instid1(VALU_DEP_1)
	v_cmp_eq_u32_e64 s2, 0, v10
	v_cndmask_b32_e64 v10, v12, v11, s2
; %bb.66:
	s_or_b32 exec_lo, exec_lo, s3
	s_waitcnt vmcnt(1)
	v_lshlrev_b32_e32 v11, 16, v5
	s_delay_alu instid0(VALU_DEP_1) | instskip(NEXT) | instid1(VALU_DEP_1)
	v_mul_f32_e32 v12, v25, v11
	v_and_b32_e32 v11, 0x7f800000, v12
	s_delay_alu instid0(VALU_DEP_1) | instskip(NEXT) | instid1(VALU_DEP_1)
	v_cmp_ne_u32_e64 s2, 0x7f800000, v11
                                        ; implicit-def: $vgpr11
	s_and_saveexec_b32 s3, s2
	s_delay_alu instid0(SALU_CYCLE_1)
	s_xor_b32 s2, exec_lo, s3
; %bb.67:
	v_bfe_u32 v11, v12, 16, 1
	s_delay_alu instid0(VALU_DEP_1)
	v_add3_u32 v11, v12, v11, 0x7fff
                                        ; implicit-def: $vgpr12
; %bb.68:
	s_and_not1_saveexec_b32 s3, s2
; %bb.69:
	v_and_b32_e32 v11, 0xffff, v12
	v_or_b32_e32 v15, 0x10000, v12
	s_delay_alu instid0(VALU_DEP_2) | instskip(NEXT) | instid1(VALU_DEP_1)
	v_cmp_eq_u32_e64 s2, 0, v11
	v_cndmask_b32_e64 v11, v15, v12, s2
; %bb.70:
	s_or_b32 exec_lo, exec_lo, s3
	v_and_b32_e32 v5, 0xffff0000, v5
	s_delay_alu instid0(VALU_DEP_1) | instskip(NEXT) | instid1(VALU_DEP_1)
	v_mul_f32_e32 v12, v24, v5
	v_and_b32_e32 v5, 0x7f800000, v12
	s_delay_alu instid0(VALU_DEP_1) | instskip(NEXT) | instid1(VALU_DEP_1)
	v_cmp_ne_u32_e64 s2, 0x7f800000, v5
                                        ; implicit-def: $vgpr5
	s_and_saveexec_b32 s3, s2
	s_delay_alu instid0(SALU_CYCLE_1)
	s_xor_b32 s2, exec_lo, s3
; %bb.71:
	v_bfe_u32 v5, v12, 16, 1
	s_delay_alu instid0(VALU_DEP_1)
	v_add3_u32 v5, v12, v5, 0x7fff
                                        ; implicit-def: $vgpr12
; %bb.72:
	s_and_not1_saveexec_b32 s3, s2
; %bb.73:
	v_and_b32_e32 v5, 0xffff, v12
	v_or_b32_e32 v15, 0x10000, v12
	s_delay_alu instid0(VALU_DEP_2) | instskip(NEXT) | instid1(VALU_DEP_1)
	v_cmp_eq_u32_e64 s2, 0, v5
	v_cndmask_b32_e64 v5, v15, v12, s2
; %bb.74:
	s_or_b32 exec_lo, exec_lo, s3
	v_and_b32_e32 v12, 0xffff0000, v11
	v_lshlrev_b32_e32 v11, 16, v6
	s_delay_alu instid0(VALU_DEP_1) | instskip(NEXT) | instid1(VALU_DEP_1)
	v_fmac_f32_e32 v12, v11, v23
	v_and_b32_e32 v11, 0x7f800000, v12
	s_delay_alu instid0(VALU_DEP_1) | instskip(NEXT) | instid1(VALU_DEP_1)
	v_cmp_ne_u32_e64 s2, 0x7f800000, v11
                                        ; implicit-def: $vgpr11
	s_and_saveexec_b32 s3, s2
	s_delay_alu instid0(SALU_CYCLE_1)
	s_xor_b32 s2, exec_lo, s3
; %bb.75:
	v_bfe_u32 v11, v12, 16, 1
	s_delay_alu instid0(VALU_DEP_1)
	v_add3_u32 v11, v12, v11, 0x7fff
                                        ; implicit-def: $vgpr12
; %bb.76:
	s_and_not1_saveexec_b32 s3, s2
; %bb.77:
	v_and_b32_e32 v11, 0xffff, v12
	v_or_b32_e32 v15, 0x10000, v12
	s_delay_alu instid0(VALU_DEP_2) | instskip(NEXT) | instid1(VALU_DEP_1)
	v_cmp_eq_u32_e64 s2, 0, v11
	v_cndmask_b32_e64 v11, v15, v12, s2
; %bb.78:
	s_or_b32 exec_lo, exec_lo, s3
	v_and_b32_e32 v12, 0xffff0000, v5
	v_and_b32_e32 v5, 0xffff0000, v6
	s_delay_alu instid0(VALU_DEP_1) | instskip(NEXT) | instid1(VALU_DEP_1)
	v_fmac_f32_e32 v12, v5, v22
	v_and_b32_e32 v5, 0x7f800000, v12
	s_delay_alu instid0(VALU_DEP_1) | instskip(NEXT) | instid1(VALU_DEP_1)
	v_cmp_ne_u32_e64 s2, 0x7f800000, v5
                                        ; implicit-def: $vgpr5
	s_and_saveexec_b32 s3, s2
	s_delay_alu instid0(SALU_CYCLE_1)
	s_xor_b32 s2, exec_lo, s3
; %bb.79:
	v_bfe_u32 v5, v12, 16, 1
	s_delay_alu instid0(VALU_DEP_1)
	v_add3_u32 v5, v12, v5, 0x7fff
                                        ; implicit-def: $vgpr12
; %bb.80:
	s_and_not1_saveexec_b32 s3, s2
; %bb.81:
	v_and_b32_e32 v5, 0xffff, v12
	v_or_b32_e32 v6, 0x10000, v12
	s_delay_alu instid0(VALU_DEP_2) | instskip(NEXT) | instid1(VALU_DEP_1)
	v_cmp_eq_u32_e64 s2, 0, v5
	v_cndmask_b32_e64 v5, v6, v12, s2
; %bb.82:
	s_or_b32 exec_lo, exec_lo, s3
	v_and_b32_e32 v11, 0xffff0000, v11
	v_lshlrev_b32_e32 v6, 16, v7
	s_delay_alu instid0(VALU_DEP_1) | instskip(NEXT) | instid1(VALU_DEP_1)
	v_fmac_f32_e32 v11, v6, v21
	v_and_b32_e32 v6, 0x7f800000, v11
	s_delay_alu instid0(VALU_DEP_1) | instskip(NEXT) | instid1(VALU_DEP_1)
	v_cmp_ne_u32_e64 s2, 0x7f800000, v6
                                        ; implicit-def: $vgpr6
	s_and_saveexec_b32 s3, s2
	s_delay_alu instid0(SALU_CYCLE_1)
	s_xor_b32 s2, exec_lo, s3
; %bb.83:
	v_bfe_u32 v6, v11, 16, 1
	s_delay_alu instid0(VALU_DEP_1)
	v_add3_u32 v6, v11, v6, 0x7fff
                                        ; implicit-def: $vgpr11
; %bb.84:
	s_and_not1_saveexec_b32 s3, s2
; %bb.85:
	v_and_b32_e32 v6, 0xffff, v11
	v_or_b32_e32 v12, 0x10000, v11
	s_delay_alu instid0(VALU_DEP_2) | instskip(NEXT) | instid1(VALU_DEP_1)
	v_cmp_eq_u32_e64 s2, 0, v6
	v_cndmask_b32_e64 v6, v12, v11, s2
; %bb.86:
	s_or_b32 exec_lo, exec_lo, s3
	v_and_b32_e32 v5, 0xffff0000, v5
	v_and_b32_e32 v7, 0xffff0000, v7
	s_delay_alu instid0(VALU_DEP_1) | instskip(NEXT) | instid1(VALU_DEP_1)
	v_fmac_f32_e32 v5, v7, v20
	v_and_b32_e32 v7, 0x7f800000, v5
	s_delay_alu instid0(VALU_DEP_1) | instskip(NEXT) | instid1(VALU_DEP_1)
	v_cmp_ne_u32_e64 s2, 0x7f800000, v7
                                        ; implicit-def: $vgpr7
	s_and_saveexec_b32 s3, s2
	s_delay_alu instid0(SALU_CYCLE_1)
	s_xor_b32 s2, exec_lo, s3
; %bb.87:
	v_bfe_u32 v7, v5, 16, 1
	s_delay_alu instid0(VALU_DEP_1)
	v_add3_u32 v7, v5, v7, 0x7fff
                                        ; implicit-def: $vgpr5
; %bb.88:
	s_and_not1_saveexec_b32 s3, s2
; %bb.89:
	v_and_b32_e32 v7, 0xffff, v5
	v_or_b32_e32 v11, 0x10000, v5
	s_delay_alu instid0(VALU_DEP_2) | instskip(NEXT) | instid1(VALU_DEP_1)
	v_cmp_eq_u32_e64 s2, 0, v7
	v_cndmask_b32_e64 v7, v11, v5, s2
; %bb.90:
	s_or_b32 exec_lo, exec_lo, s3
	v_and_b32_e32 v6, 0xffff0000, v6
	v_lshlrev_b32_e32 v5, 16, v8
	s_delay_alu instid0(VALU_DEP_1) | instskip(NEXT) | instid1(VALU_DEP_1)
	v_fmac_f32_e32 v6, v5, v19
	v_and_b32_e32 v5, 0x7f800000, v6
	s_delay_alu instid0(VALU_DEP_1) | instskip(NEXT) | instid1(VALU_DEP_1)
	v_cmp_ne_u32_e64 s2, 0x7f800000, v5
                                        ; implicit-def: $vgpr5
	s_and_saveexec_b32 s3, s2
	s_delay_alu instid0(SALU_CYCLE_1)
	s_xor_b32 s2, exec_lo, s3
; %bb.91:
	v_bfe_u32 v5, v6, 16, 1
	s_delay_alu instid0(VALU_DEP_1)
	v_add3_u32 v5, v6, v5, 0x7fff
                                        ; implicit-def: $vgpr6
; %bb.92:
	s_and_not1_saveexec_b32 s3, s2
; %bb.93:
	v_and_b32_e32 v5, 0xffff, v6
	v_or_b32_e32 v11, 0x10000, v6
	s_delay_alu instid0(VALU_DEP_2) | instskip(NEXT) | instid1(VALU_DEP_1)
	v_cmp_eq_u32_e64 s2, 0, v5
	v_cndmask_b32_e64 v5, v11, v6, s2
; %bb.94:
	s_or_b32 exec_lo, exec_lo, s3
	v_and_b32_e32 v7, 0xffff0000, v7
	v_and_b32_e32 v6, 0xffff0000, v8
	s_delay_alu instid0(VALU_DEP_1) | instskip(NEXT) | instid1(VALU_DEP_1)
	v_fmac_f32_e32 v7, v6, v18
	v_and_b32_e32 v6, 0x7f800000, v7
	s_delay_alu instid0(VALU_DEP_1) | instskip(NEXT) | instid1(VALU_DEP_1)
	v_cmp_ne_u32_e64 s2, 0x7f800000, v6
                                        ; implicit-def: $vgpr6
	s_and_saveexec_b32 s3, s2
	s_delay_alu instid0(SALU_CYCLE_1)
	s_xor_b32 s2, exec_lo, s3
; %bb.95:
	v_bfe_u32 v6, v7, 16, 1
	s_delay_alu instid0(VALU_DEP_1)
	v_add3_u32 v6, v7, v6, 0x7fff
                                        ; implicit-def: $vgpr7
; %bb.96:
	s_and_not1_saveexec_b32 s3, s2
; %bb.97:
	v_and_b32_e32 v6, 0xffff, v7
	v_or_b32_e32 v8, 0x10000, v7
	s_delay_alu instid0(VALU_DEP_2) | instskip(NEXT) | instid1(VALU_DEP_1)
	v_cmp_eq_u32_e64 s2, 0, v6
	v_cndmask_b32_e64 v6, v8, v7, s2
; %bb.98:
	s_or_b32 exec_lo, exec_lo, s3
	s_waitcnt vmcnt(0)
	v_lshlrev_b32_e32 v7, 16, v1
	s_delay_alu instid0(VALU_DEP_1) | instskip(NEXT) | instid1(VALU_DEP_1)
	v_mul_f32_e32 v8, v25, v7
	v_and_b32_e32 v7, 0x7f800000, v8
	s_delay_alu instid0(VALU_DEP_1) | instskip(NEXT) | instid1(VALU_DEP_1)
	v_cmp_ne_u32_e64 s2, 0x7f800000, v7
                                        ; implicit-def: $vgpr7
	s_and_saveexec_b32 s3, s2
	s_delay_alu instid0(SALU_CYCLE_1)
	s_xor_b32 s2, exec_lo, s3
; %bb.99:
	v_bfe_u32 v7, v8, 16, 1
	s_delay_alu instid0(VALU_DEP_1)
	v_add3_u32 v7, v8, v7, 0x7fff
                                        ; implicit-def: $vgpr8
; %bb.100:
	s_and_not1_saveexec_b32 s3, s2
; %bb.101:
	v_and_b32_e32 v7, 0xffff, v8
	v_or_b32_e32 v11, 0x10000, v8
	s_delay_alu instid0(VALU_DEP_2) | instskip(NEXT) | instid1(VALU_DEP_1)
	v_cmp_eq_u32_e64 s2, 0, v7
	v_cndmask_b32_e64 v7, v11, v8, s2
; %bb.102:
	s_or_b32 exec_lo, exec_lo, s3
	v_and_b32_e32 v1, 0xffff0000, v1
	s_delay_alu instid0(VALU_DEP_1) | instskip(NEXT) | instid1(VALU_DEP_1)
	v_mul_f32_e32 v8, v24, v1
	v_and_b32_e32 v1, 0x7f800000, v8
	s_delay_alu instid0(VALU_DEP_1) | instskip(NEXT) | instid1(VALU_DEP_1)
	v_cmp_ne_u32_e64 s2, 0x7f800000, v1
                                        ; implicit-def: $vgpr1
	s_and_saveexec_b32 s3, s2
	s_delay_alu instid0(SALU_CYCLE_1)
	s_xor_b32 s2, exec_lo, s3
; %bb.103:
	v_bfe_u32 v1, v8, 16, 1
	s_delay_alu instid0(VALU_DEP_1)
	v_add3_u32 v1, v8, v1, 0x7fff
                                        ; implicit-def: $vgpr8
; %bb.104:
	s_and_not1_saveexec_b32 s3, s2
; %bb.105:
	v_and_b32_e32 v1, 0xffff, v8
	v_or_b32_e32 v11, 0x10000, v8
	s_delay_alu instid0(VALU_DEP_2) | instskip(NEXT) | instid1(VALU_DEP_1)
	v_cmp_eq_u32_e64 s2, 0, v1
	v_cndmask_b32_e64 v1, v11, v8, s2
; %bb.106:
	s_or_b32 exec_lo, exec_lo, s3
	v_and_b32_e32 v8, 0xffff0000, v7
	v_lshlrev_b32_e32 v7, 16, v2
	s_delay_alu instid0(VALU_DEP_1) | instskip(NEXT) | instid1(VALU_DEP_1)
	v_fmac_f32_e32 v8, v7, v23
	v_and_b32_e32 v7, 0x7f800000, v8
	s_delay_alu instid0(VALU_DEP_1) | instskip(NEXT) | instid1(VALU_DEP_1)
	v_cmp_ne_u32_e64 s2, 0x7f800000, v7
                                        ; implicit-def: $vgpr7
	s_and_saveexec_b32 s3, s2
	s_delay_alu instid0(SALU_CYCLE_1)
	s_xor_b32 s2, exec_lo, s3
; %bb.107:
	v_bfe_u32 v7, v8, 16, 1
	s_delay_alu instid0(VALU_DEP_1)
	v_add3_u32 v7, v8, v7, 0x7fff
                                        ; implicit-def: $vgpr8
; %bb.108:
	s_and_not1_saveexec_b32 s3, s2
; %bb.109:
	v_and_b32_e32 v7, 0xffff, v8
	v_or_b32_e32 v11, 0x10000, v8
	s_delay_alu instid0(VALU_DEP_2) | instskip(NEXT) | instid1(VALU_DEP_1)
	v_cmp_eq_u32_e64 s2, 0, v7
	v_cndmask_b32_e64 v7, v11, v8, s2
; %bb.110:
	s_or_b32 exec_lo, exec_lo, s3
	v_and_b32_e32 v8, 0xffff0000, v1
	v_and_b32_e32 v1, 0xffff0000, v2
	s_delay_alu instid0(VALU_DEP_1) | instskip(NEXT) | instid1(VALU_DEP_1)
	v_fmac_f32_e32 v8, v1, v22
	v_and_b32_e32 v1, 0x7f800000, v8
	s_delay_alu instid0(VALU_DEP_1) | instskip(NEXT) | instid1(VALU_DEP_1)
	v_cmp_ne_u32_e64 s2, 0x7f800000, v1
                                        ; implicit-def: $vgpr1
	s_and_saveexec_b32 s3, s2
	s_delay_alu instid0(SALU_CYCLE_1)
	s_xor_b32 s2, exec_lo, s3
; %bb.111:
	v_bfe_u32 v1, v8, 16, 1
	s_delay_alu instid0(VALU_DEP_1)
	v_add3_u32 v1, v8, v1, 0x7fff
                                        ; implicit-def: $vgpr8
; %bb.112:
	s_and_not1_saveexec_b32 s3, s2
; %bb.113:
	v_and_b32_e32 v1, 0xffff, v8
	v_or_b32_e32 v2, 0x10000, v8
	s_delay_alu instid0(VALU_DEP_2) | instskip(NEXT) | instid1(VALU_DEP_1)
	v_cmp_eq_u32_e64 s2, 0, v1
	v_cndmask_b32_e64 v1, v2, v8, s2
; %bb.114:
	s_or_b32 exec_lo, exec_lo, s3
	v_and_b32_e32 v7, 0xffff0000, v7
	v_lshlrev_b32_e32 v2, 16, v3
	s_delay_alu instid0(VALU_DEP_1) | instskip(NEXT) | instid1(VALU_DEP_1)
	v_fmac_f32_e32 v7, v2, v21
	v_and_b32_e32 v2, 0x7f800000, v7
	s_delay_alu instid0(VALU_DEP_1) | instskip(NEXT) | instid1(VALU_DEP_1)
	v_cmp_ne_u32_e64 s2, 0x7f800000, v2
                                        ; implicit-def: $vgpr2
	s_and_saveexec_b32 s3, s2
	s_delay_alu instid0(SALU_CYCLE_1)
	s_xor_b32 s2, exec_lo, s3
; %bb.115:
	v_bfe_u32 v2, v7, 16, 1
	s_delay_alu instid0(VALU_DEP_1)
	v_add3_u32 v2, v7, v2, 0x7fff
                                        ; implicit-def: $vgpr7
; %bb.116:
	s_and_not1_saveexec_b32 s3, s2
; %bb.117:
	v_and_b32_e32 v2, 0xffff, v7
	v_or_b32_e32 v8, 0x10000, v7
	s_delay_alu instid0(VALU_DEP_2) | instskip(NEXT) | instid1(VALU_DEP_1)
	v_cmp_eq_u32_e64 s2, 0, v2
	v_cndmask_b32_e64 v2, v8, v7, s2
; %bb.118:
	s_or_b32 exec_lo, exec_lo, s3
	v_and_b32_e32 v1, 0xffff0000, v1
	v_and_b32_e32 v3, 0xffff0000, v3
	s_delay_alu instid0(VALU_DEP_1) | instskip(NEXT) | instid1(VALU_DEP_1)
	v_fmac_f32_e32 v1, v3, v20
	v_and_b32_e32 v3, 0x7f800000, v1
	s_delay_alu instid0(VALU_DEP_1) | instskip(NEXT) | instid1(VALU_DEP_1)
	v_cmp_ne_u32_e64 s2, 0x7f800000, v3
                                        ; implicit-def: $vgpr3
	s_and_saveexec_b32 s3, s2
	s_delay_alu instid0(SALU_CYCLE_1)
	s_xor_b32 s2, exec_lo, s3
; %bb.119:
	v_bfe_u32 v3, v1, 16, 1
	s_delay_alu instid0(VALU_DEP_1)
	v_add3_u32 v3, v1, v3, 0x7fff
                                        ; implicit-def: $vgpr1
; %bb.120:
	s_and_not1_saveexec_b32 s3, s2
; %bb.121:
	v_and_b32_e32 v3, 0xffff, v1
	v_or_b32_e32 v7, 0x10000, v1
	s_delay_alu instid0(VALU_DEP_2) | instskip(NEXT) | instid1(VALU_DEP_1)
	v_cmp_eq_u32_e64 s2, 0, v3
	v_cndmask_b32_e64 v3, v7, v1, s2
; %bb.122:
	s_or_b32 exec_lo, exec_lo, s3
	v_and_b32_e32 v2, 0xffff0000, v2
	v_lshlrev_b32_e32 v1, 16, v4
	s_delay_alu instid0(VALU_DEP_1) | instskip(NEXT) | instid1(VALU_DEP_1)
	v_fmac_f32_e32 v2, v1, v19
	v_and_b32_e32 v1, 0x7f800000, v2
	s_delay_alu instid0(VALU_DEP_1) | instskip(NEXT) | instid1(VALU_DEP_1)
	v_cmp_ne_u32_e64 s2, 0x7f800000, v1
                                        ; implicit-def: $vgpr1
	s_and_saveexec_b32 s3, s2
	s_delay_alu instid0(SALU_CYCLE_1)
	s_xor_b32 s2, exec_lo, s3
; %bb.123:
	v_bfe_u32 v1, v2, 16, 1
	s_delay_alu instid0(VALU_DEP_1)
	v_add3_u32 v1, v2, v1, 0x7fff
                                        ; implicit-def: $vgpr2
; %bb.124:
	s_and_not1_saveexec_b32 s3, s2
; %bb.125:
	v_and_b32_e32 v1, 0xffff, v2
	v_or_b32_e32 v7, 0x10000, v2
	s_delay_alu instid0(VALU_DEP_2) | instskip(NEXT) | instid1(VALU_DEP_1)
	v_cmp_eq_u32_e64 s2, 0, v1
	v_cndmask_b32_e64 v1, v7, v2, s2
; %bb.126:
	s_or_b32 exec_lo, exec_lo, s3
	v_and_b32_e32 v3, 0xffff0000, v3
	v_and_b32_e32 v2, 0xffff0000, v4
	s_delay_alu instid0(VALU_DEP_1) | instskip(NEXT) | instid1(VALU_DEP_1)
	v_fmac_f32_e32 v3, v2, v18
	v_and_b32_e32 v2, 0x7f800000, v3
	s_delay_alu instid0(VALU_DEP_1) | instskip(NEXT) | instid1(VALU_DEP_1)
	v_cmp_ne_u32_e64 s2, 0x7f800000, v2
                                        ; implicit-def: $vgpr2
	s_and_saveexec_b32 s3, s2
	s_delay_alu instid0(SALU_CYCLE_1)
	s_xor_b32 s2, exec_lo, s3
; %bb.127:
	v_bfe_u32 v2, v3, 16, 1
	s_delay_alu instid0(VALU_DEP_1)
	v_add3_u32 v2, v3, v2, 0x7fff
                                        ; implicit-def: $vgpr3
; %bb.128:
	s_and_not1_saveexec_b32 s3, s2
; %bb.129:
	v_and_b32_e32 v2, 0xffff, v3
	v_or_b32_e32 v4, 0x10000, v3
	s_delay_alu instid0(VALU_DEP_2) | instskip(NEXT) | instid1(VALU_DEP_1)
	v_cmp_eq_u32_e64 s2, 0, v2
	v_cndmask_b32_e64 v2, v4, v3, s2
; %bb.130:
	s_or_b32 exec_lo, exec_lo, s3
	v_and_b32_e32 v1, 0xffff0000, v1
	s_delay_alu instid0(VALU_DEP_2) | instskip(SKIP_1) | instid1(VALU_DEP_2)
	v_and_b32_e32 v2, 0xffff0000, v2
	v_mbcnt_lo_u32_b32 v7, -1, 0
	v_dual_add_f32 v1, v1, v2 :: v_dual_and_b32 v8, 0xffff0000, v9
	v_and_b32_e32 v10, 0xffff0000, v10
	s_delay_alu instid0(VALU_DEP_3) | instskip(NEXT) | instid1(VALU_DEP_3)
	v_xor_b32_e32 v9, 16, v7
	v_cndmask_b32_e32 v1, 0, v1, vcc_lo
	s_delay_alu instid0(VALU_DEP_3) | instskip(SKIP_4) | instid1(VALU_DEP_4)
	v_dual_add_f32 v8, v8, v10 :: v_dual_and_b32 v3, 0xffff0000, v5
	v_and_b32_e32 v6, 0xffff0000, v6
	v_and_b32_e32 v4, 0xffff0000, v13
	v_and_b32_e32 v5, 0xffff0000, v14
	v_cmp_gt_i32_e64 s2, 32, v9
	v_add_f32_e32 v3, v3, v6
	s_delay_alu instid0(VALU_DEP_1) | instskip(SKIP_4) | instid1(VALU_DEP_2)
	v_cndmask_b32_e32 v6, 0, v3, vcc_lo
	v_xor_b32_e32 v3, 8, v7
	v_add_f32_e32 v4, v4, v5
	v_cndmask_b32_e64 v5, v7, v9, s2
	s_mov_b32 s2, exec_lo
	v_cndmask_b32_e32 v4, 0, v4, vcc_lo
	s_delay_alu instid0(VALU_DEP_2)
	v_dual_cndmask_b32 v5, 0, v8 :: v_dual_lshlrev_b32 v2, 2, v5
	v_cmp_gt_i32_e32 vcc_lo, 32, v3
	ds_bpermute_b32 v11, v2, v1
	v_cndmask_b32_e32 v3, v7, v3, vcc_lo
	s_waitcnt lgkmcnt(0)
	v_add_f32_e32 v1, v1, v11
	ds_bpermute_b32 v8, v2, v4
	ds_bpermute_b32 v9, v2, v5
	;; [unrolled: 1-line block ×3, first 2 shown]
	s_waitcnt lgkmcnt(2)
	v_dual_add_f32 v8, v4, v8 :: v_dual_lshlrev_b32 v3, 2, v3
	ds_bpermute_b32 v12, v3, v1
	s_waitcnt lgkmcnt(1)
	v_dual_add_f32 v5, v5, v9 :: v_dual_add_f32 v6, v6, v10
	v_xor_b32_e32 v4, 4, v7
	ds_bpermute_b32 v9, v3, v8
	ds_bpermute_b32 v10, v3, v5
	v_cmp_gt_i32_e32 vcc_lo, 32, v4
	v_cndmask_b32_e32 v4, v7, v4, vcc_lo
	s_waitcnt lgkmcnt(2)
	v_add_f32_e32 v1, v1, v12
	ds_bpermute_b32 v11, v3, v6
	s_waitcnt lgkmcnt(0)
	v_add_f32_e32 v6, v6, v11
	v_dual_add_f32 v8, v8, v9 :: v_dual_add_f32 v9, v5, v10
	v_xor_b32_e32 v5, 2, v7
	s_delay_alu instid0(VALU_DEP_1)
	v_cmp_gt_i32_e32 vcc_lo, 32, v5
	v_dual_cndmask_b32 v5, v7, v5 :: v_dual_lshlrev_b32 v4, 2, v4
	ds_bpermute_b32 v10, v4, v8
	ds_bpermute_b32 v11, v4, v9
	;; [unrolled: 1-line block ×3, first 2 shown]
	v_lshlrev_b32_e32 v5, 2, v5
	ds_bpermute_b32 v12, v4, v6
	s_waitcnt lgkmcnt(1)
	v_dual_add_f32 v8, v8, v10 :: v_dual_add_f32 v1, v1, v13
	v_add_f32_e32 v10, v9, v11
	ds_bpermute_b32 v9, v5, v8
	s_waitcnt lgkmcnt(1)
	v_add_f32_e32 v11, v6, v12
	ds_bpermute_b32 v14, v5, v1
	v_xor_b32_e32 v6, 1, v7
	ds_bpermute_b32 v13, v5, v11
	v_cmp_gt_i32_e32 vcc_lo, 32, v6
	v_dual_cndmask_b32 v6, v7, v6 :: v_dual_and_b32 v7, 31, v0
	s_waitcnt lgkmcnt(2)
	s_delay_alu instid0(VALU_DEP_1)
	v_dual_add_f32 v9, v8, v9 :: v_dual_lshlrev_b32 v6, 2, v6
	ds_bpermute_b32 v12, v5, v10
	s_waitcnt lgkmcnt(2)
	v_add_f32_e32 v8, v1, v14
	v_lshrrev_b32_e32 v1, 5, v0
	s_waitcnt lgkmcnt(1)
	v_add_f32_e32 v11, v11, v13
	ds_bpermute_b32 v13, v6, v9
	ds_bpermute_b32 v15, v6, v11
	s_waitcnt lgkmcnt(2)
	v_add_f32_e32 v10, v10, v12
	ds_bpermute_b32 v12, v6, v8
	ds_bpermute_b32 v14, v6, v10
	v_cmpx_gt_u32_e32 4, v7
	s_cbranch_execz .LBB5_132
; %bb.131:
	s_waitcnt lgkmcnt(0)
	v_dual_add_f32 v9, v9, v13 :: v_dual_add_f32 v10, v10, v14
	v_cmp_eq_u32_e32 vcc_lo, 1, v7
	v_dual_add_f32 v11, v11, v15 :: v_dual_add_f32 v8, v8, v12
	s_delay_alu instid0(VALU_DEP_3) | instskip(SKIP_1) | instid1(VALU_DEP_2)
	v_dual_cndmask_b32 v9, v9, v10 :: v_dual_lshlrev_b32 v10, 2, v1
	v_cmp_eq_u32_e32 vcc_lo, 2, v7
	v_lshl_or_b32 v10, v7, 7, v10
	s_delay_alu instid0(VALU_DEP_3) | instskip(SKIP_1) | instid1(VALU_DEP_2)
	v_cndmask_b32_e32 v9, v9, v11, vcc_lo
	v_cmp_eq_u32_e32 vcc_lo, 3, v7
	v_cndmask_b32_e32 v8, v9, v8, vcc_lo
	ds_store_b32 v10, v8
.LBB5_132:
	s_or_b32 exec_lo, exec_lo, s2
	s_waitcnt lgkmcnt(0)
	s_barrier
	buffer_gl0_inv
	s_mov_b32 s2, exec_lo
	v_cmpx_gt_u32_e32 64, v0
	s_cbranch_execz .LBB5_145
; %bb.133:
	s_load_b32 s0, s[0:1], 0x2c
	v_and_b32_e32 v8, 15, v0
	v_mov_b32_e32 v0, 0
	s_waitcnt lgkmcnt(0)
	s_and_b32 s0, 0xffff, s0
	s_delay_alu instid0(SALU_CYCLE_1) | instskip(NEXT) | instid1(SALU_CYCLE_1)
	s_lshr_b32 s0, s0, 5
	v_cmp_gt_u32_e32 vcc_lo, s0, v8
	s_and_saveexec_b32 s0, vcc_lo
	s_cbranch_execz .LBB5_135
; %bb.134:
	v_lshlrev_b32_e32 v0, 2, v8
	s_delay_alu instid0(VALU_DEP_1)
	v_and_or_b32 v0, 0x1f80, v17, v0
	ds_load_b32 v0, v0
.LBB5_135:
	s_or_b32 exec_lo, exec_lo, s0
	s_waitcnt lgkmcnt(0)
	ds_bpermute_b32 v3, v3, v0
	v_cmp_eq_u32_e32 vcc_lo, 0, v7
	s_waitcnt lgkmcnt(0)
	v_add_f32_e32 v0, v0, v3
	ds_bpermute_b32 v3, v4, v0
	s_waitcnt lgkmcnt(0)
	v_add_f32_e32 v0, v0, v3
	ds_bpermute_b32 v3, v5, v0
	s_waitcnt lgkmcnt(0)
	v_add_f32_e32 v0, v0, v3
	ds_bpermute_b32 v3, v6, v0
	s_waitcnt lgkmcnt(0)
	v_add_f32_e32 v3, v0, v3
	ds_bpermute_b32 v2, v2, v3
	s_and_b32 exec_lo, exec_lo, vcc_lo
	s_cbranch_execz .LBB5_145
; %bb.136:
	v_and_b32_e32 v0, 0x7f800000, v3
	s_delay_alu instid0(VALU_DEP_1) | instskip(SKIP_1) | instid1(SALU_CYCLE_1)
	v_cmp_ne_u32_e32 vcc_lo, 0x7f800000, v0
                                        ; implicit-def: $vgpr0
	s_and_saveexec_b32 s0, vcc_lo
	s_xor_b32 s0, exec_lo, s0
; %bb.137:
	v_bfe_u32 v0, v3, 16, 1
	s_delay_alu instid0(VALU_DEP_1)
	v_add3_u32 v0, v3, v0, 0x7fff
                                        ; implicit-def: $vgpr3
; %bb.138:
	s_and_not1_saveexec_b32 s0, s0
; %bb.139:
	v_and_b32_e32 v0, 0xffff, v3
	v_or_b32_e32 v4, 0x10000, v3
	s_delay_alu instid0(VALU_DEP_2) | instskip(NEXT) | instid1(VALU_DEP_2)
	v_cmp_eq_u32_e32 vcc_lo, 0, v0
	v_cndmask_b32_e32 v0, v4, v3, vcc_lo
; %bb.140:
	s_or_b32 exec_lo, exec_lo, s0
	s_waitcnt lgkmcnt(0)
	v_and_b32_e32 v3, 0x7f800000, v2
	s_delay_alu instid0(VALU_DEP_1) | instskip(SKIP_1) | instid1(SALU_CYCLE_1)
	v_cmp_ne_u32_e32 vcc_lo, 0x7f800000, v3
                                        ; implicit-def: $vgpr3
	s_and_saveexec_b32 s0, vcc_lo
	s_xor_b32 s0, exec_lo, s0
; %bb.141:
	v_bfe_u32 v3, v2, 16, 1
	s_delay_alu instid0(VALU_DEP_1)
	v_add3_u32 v3, v2, v3, 0x7fff
                                        ; implicit-def: $vgpr2
; %bb.142:
	s_and_not1_saveexec_b32 s0, s0
; %bb.143:
	v_and_b32_e32 v3, 0xffff, v2
	v_or_b32_e32 v4, 0x10000, v2
	s_delay_alu instid0(VALU_DEP_2) | instskip(NEXT) | instid1(VALU_DEP_2)
	v_cmp_eq_u32_e32 vcc_lo, 0, v3
	v_cndmask_b32_e32 v3, v4, v2, vcc_lo
; %bb.144:
	s_or_b32 exec_lo, exec_lo, s0
	s_lshl_b32 s0, s15, 1
	v_mov_b32_e32 v2, 0
	v_and_or_b32 v1, 0x7ffffffe, s0, v1
	v_perm_b32 v0, v3, v0, 0x7060302
	s_delay_alu instid0(VALU_DEP_2) | instskip(NEXT) | instid1(VALU_DEP_1)
	v_lshlrev_b64 v[1:2], 2, v[1:2]
	v_add_co_u32 v1, vcc_lo, s8, v1
	s_delay_alu instid0(VALU_DEP_2)
	v_add_co_ci_u32_e32 v2, vcc_lo, s9, v2, vcc_lo
	global_store_b32 v[1:2], v0, off
.LBB5_145:
	s_nop 0
	s_sendmsg sendmsg(MSG_DEALLOC_VGPRS)
	s_endpgm
	.section	.rodata,"a",@progbits
	.p2align	6, 0x0
	.amdhsa_kernel _Z14LLGemm1_kernelIN3c108BFloat16ELi4EEvPKT_S4_PS2_i
		.amdhsa_group_segment_fixed_size 512
		.amdhsa_private_segment_fixed_size 0
		.amdhsa_kernarg_size 288
		.amdhsa_user_sgpr_count 15
		.amdhsa_user_sgpr_dispatch_ptr 0
		.amdhsa_user_sgpr_queue_ptr 0
		.amdhsa_user_sgpr_kernarg_segment_ptr 1
		.amdhsa_user_sgpr_dispatch_id 0
		.amdhsa_user_sgpr_private_segment_size 0
		.amdhsa_wavefront_size32 1
		.amdhsa_uses_dynamic_stack 0
		.amdhsa_enable_private_segment 0
		.amdhsa_system_sgpr_workgroup_id_x 1
		.amdhsa_system_sgpr_workgroup_id_y 0
		.amdhsa_system_sgpr_workgroup_id_z 0
		.amdhsa_system_sgpr_workgroup_info 0
		.amdhsa_system_vgpr_workitem_id 0
		.amdhsa_next_free_vgpr 29
		.amdhsa_next_free_sgpr 16
		.amdhsa_reserve_vcc 1
		.amdhsa_float_round_mode_32 0
		.amdhsa_float_round_mode_16_64 0
		.amdhsa_float_denorm_mode_32 3
		.amdhsa_float_denorm_mode_16_64 3
		.amdhsa_dx10_clamp 1
		.amdhsa_ieee_mode 1
		.amdhsa_fp16_overflow 0
		.amdhsa_workgroup_processor_mode 1
		.amdhsa_memory_ordered 1
		.amdhsa_forward_progress 0
		.amdhsa_shared_vgpr_count 0
		.amdhsa_exception_fp_ieee_invalid_op 0
		.amdhsa_exception_fp_denorm_src 0
		.amdhsa_exception_fp_ieee_div_zero 0
		.amdhsa_exception_fp_ieee_overflow 0
		.amdhsa_exception_fp_ieee_underflow 0
		.amdhsa_exception_fp_ieee_inexact 0
		.amdhsa_exception_int_div_zero 0
	.end_amdhsa_kernel
	.section	.text._Z14LLGemm1_kernelIN3c108BFloat16ELi4EEvPKT_S4_PS2_i,"axG",@progbits,_Z14LLGemm1_kernelIN3c108BFloat16ELi4EEvPKT_S4_PS2_i,comdat
.Lfunc_end5:
	.size	_Z14LLGemm1_kernelIN3c108BFloat16ELi4EEvPKT_S4_PS2_i, .Lfunc_end5-_Z14LLGemm1_kernelIN3c108BFloat16ELi4EEvPKT_S4_PS2_i
                                        ; -- End function
	.section	.AMDGPU.csdata,"",@progbits
; Kernel info:
; codeLenInByte = 5356
; NumSgprs: 18
; NumVgprs: 29
; ScratchSize: 0
; MemoryBound: 0
; FloatMode: 240
; IeeeMode: 1
; LDSByteSize: 512 bytes/workgroup (compile time only)
; SGPRBlocks: 2
; VGPRBlocks: 3
; NumSGPRsForWavesPerEU: 18
; NumVGPRsForWavesPerEU: 29
; Occupancy: 16
; WaveLimiterHint : 0
; COMPUTE_PGM_RSRC2:SCRATCH_EN: 0
; COMPUTE_PGM_RSRC2:USER_SGPR: 15
; COMPUTE_PGM_RSRC2:TRAP_HANDLER: 0
; COMPUTE_PGM_RSRC2:TGID_X_EN: 1
; COMPUTE_PGM_RSRC2:TGID_Y_EN: 0
; COMPUTE_PGM_RSRC2:TGID_Z_EN: 0
; COMPUTE_PGM_RSRC2:TIDIG_COMP_CNT: 0
	.section	.text._Z14LLGemm1_kernelIN3c108BFloat16ELi8EEvPKT_S4_PS2_i,"axG",@progbits,_Z14LLGemm1_kernelIN3c108BFloat16ELi8EEvPKT_S4_PS2_i,comdat
	.protected	_Z14LLGemm1_kernelIN3c108BFloat16ELi8EEvPKT_S4_PS2_i ; -- Begin function _Z14LLGemm1_kernelIN3c108BFloat16ELi8EEvPKT_S4_PS2_i
	.globl	_Z14LLGemm1_kernelIN3c108BFloat16ELi8EEvPKT_S4_PS2_i
	.p2align	8
	.type	_Z14LLGemm1_kernelIN3c108BFloat16ELi8EEvPKT_S4_PS2_i,@function
_Z14LLGemm1_kernelIN3c108BFloat16ELi8EEvPKT_S4_PS2_i: ; @_Z14LLGemm1_kernelIN3c108BFloat16ELi8EEvPKT_S4_PS2_i
; %bb.0:
	s_clause 0x2
	s_load_b32 s2, s[0:1], 0x18
	s_load_b128 s[4:7], s[0:1], 0x0
	s_load_b64 s[8:9], s[0:1], 0x10
	v_dual_mov_b32 v38, 0 :: v_dual_lshlrev_b32 v33, 3, v0
	v_dual_mov_b32 v35, 0 :: v_dual_mov_b32 v34, 0
	v_dual_mov_b32 v37, 0 :: v_dual_mov_b32 v36, 0
	v_dual_mov_b32 v39, 0 :: v_dual_mov_b32 v40, 0
	v_mov_b32_e32 v41, 0
	s_mov_b32 s11, 0
                                        ; implicit-def: $vgpr1
                                        ; implicit-def: $vgpr5
                                        ; implicit-def: $vgpr9
                                        ; implicit-def: $vgpr13
                                        ; implicit-def: $vgpr17
                                        ; implicit-def: $vgpr21
                                        ; implicit-def: $vgpr25
                                        ; implicit-def: $vgpr29
	s_waitcnt lgkmcnt(0)
	v_cmp_gt_i32_e32 vcc_lo, s2, v33
	s_and_saveexec_b32 s3, vcc_lo
	s_cbranch_execz .LBB6_2
; %bb.1:
	s_mul_i32 s10, s15, s2
	v_lshlrev_b32_e32 v13, 4, v0
	s_and_b32 s10, s10, 0x1fffffff
	s_delay_alu instid0(SALU_CYCLE_1) | instskip(SKIP_1) | instid1(SALU_CYCLE_1)
	v_dual_mov_b32 v2, 0 :: v_dual_add_nc_u32 v1, s10, v0
	s_lshr_b32 s10, s2, 3
	s_lshl_b64 s[12:13], s[10:11], 4
	s_delay_alu instid0(VALU_DEP_1) | instskip(SKIP_1) | instid1(VALU_DEP_1)
	v_lshlrev_b64 v[3:4], 4, v[1:2]
	v_add3_u32 v1, s10, s10, v1
	v_lshlrev_b64 v[5:6], 4, v[1:2]
	s_delay_alu instid0(VALU_DEP_3) | instskip(SKIP_2) | instid1(VALU_DEP_3)
	v_add_co_u32 v3, s2, s4, v3
	v_add_nc_u32_e32 v1, s10, v1
	v_add_co_ci_u32_e64 v4, s2, s5, v4, s2
	v_add_co_u32 v9, s2, v3, s12
	s_delay_alu instid0(VALU_DEP_3) | instskip(SKIP_1) | instid1(VALU_DEP_4)
	v_lshlrev_b64 v[7:8], 4, v[1:2]
	v_add_nc_u32_e32 v1, s10, v1
	v_add_co_ci_u32_e64 v10, s2, s13, v4, s2
	s_clause 0x1
	global_load_b128 v[29:32], v[3:4], off slc dlc
	global_load_b128 v[25:28], v[9:10], off slc dlc
	v_lshlrev_b64 v[3:4], 4, v[1:2]
	v_add_nc_u32_e32 v1, s10, v1
	v_add_co_u32 v5, s2, s4, v5
	s_delay_alu instid0(VALU_DEP_1) | instskip(NEXT) | instid1(VALU_DEP_3)
	v_add_co_ci_u32_e64 v6, s2, s5, v6, s2
	v_lshlrev_b64 v[9:10], 4, v[1:2]
	v_add_nc_u32_e32 v1, s10, v1
	v_add_co_u32 v7, s2, s4, v7
	s_delay_alu instid0(VALU_DEP_1) | instskip(NEXT) | instid1(VALU_DEP_3)
	v_add_co_ci_u32_e64 v8, s2, s5, v8, s2
	v_lshlrev_b64 v[11:12], 4, v[1:2]
	v_add_nc_u32_e32 v1, s10, v1
	v_add_co_u32 v3, s2, s4, v3
	s_delay_alu instid0(VALU_DEP_1) | instskip(SKIP_1) | instid1(VALU_DEP_4)
	v_add_co_ci_u32_e64 v4, s2, s5, v4, s2
	v_add_co_u32 v9, s2, s4, v9
	v_lshlrev_b64 v[1:2], 4, v[1:2]
	v_add_co_ci_u32_e64 v10, s2, s5, v10, s2
	v_add_co_u32 v34, s2, s4, v11
	s_delay_alu instid0(VALU_DEP_1) | instskip(NEXT) | instid1(VALU_DEP_4)
	v_add_co_ci_u32_e64 v35, s2, s5, v12, s2
	v_add_co_u32 v1, s2, s4, v1
	global_load_b128 v[41:44], v13, s[6:7]
	v_add_co_ci_u32_e64 v2, s2, s5, v2, s2
	s_clause 0x5
	global_load_b128 v[21:24], v[5:6], off slc dlc
	global_load_b128 v[17:20], v[7:8], off slc dlc
	;; [unrolled: 1-line block ×6, first 2 shown]
	s_waitcnt vmcnt(6)
	v_and_b32_e32 v40, 0xffff0000, v41
	v_lshlrev_b32_e32 v41, 16, v41
	v_and_b32_e32 v38, 0xffff0000, v42
	v_lshlrev_b32_e32 v39, 16, v42
	;; [unrolled: 2-line block ×4, first 2 shown]
.LBB6_2:
	s_or_b32 exec_lo, exec_lo, s3
	v_lshlrev_b32_e32 v42, 16, v29
	s_delay_alu instid0(VALU_DEP_1) | instskip(NEXT) | instid1(VALU_DEP_1)
	v_mul_f32_e32 v43, v41, v42
	v_and_b32_e32 v42, 0x7f800000, v43
	s_delay_alu instid0(VALU_DEP_1) | instskip(NEXT) | instid1(VALU_DEP_1)
	v_cmp_ne_u32_e64 s2, 0x7f800000, v42
                                        ; implicit-def: $vgpr42
	s_and_saveexec_b32 s3, s2
	s_delay_alu instid0(SALU_CYCLE_1)
	s_xor_b32 s2, exec_lo, s3
; %bb.3:
	v_bfe_u32 v42, v43, 16, 1
	s_delay_alu instid0(VALU_DEP_1)
	v_add3_u32 v42, v43, v42, 0x7fff
                                        ; implicit-def: $vgpr43
; %bb.4:
	s_and_not1_saveexec_b32 s3, s2
; %bb.5:
	v_and_b32_e32 v42, 0xffff, v43
	v_or_b32_e32 v44, 0x10000, v43
	s_delay_alu instid0(VALU_DEP_2) | instskip(NEXT) | instid1(VALU_DEP_1)
	v_cmp_eq_u32_e64 s2, 0, v42
	v_cndmask_b32_e64 v42, v44, v43, s2
; %bb.6:
	s_or_b32 exec_lo, exec_lo, s3
	v_and_b32_e32 v29, 0xffff0000, v29
	s_delay_alu instid0(VALU_DEP_1) | instskip(NEXT) | instid1(VALU_DEP_1)
	v_mul_f32_e32 v43, v40, v29
	v_and_b32_e32 v29, 0x7f800000, v43
	s_delay_alu instid0(VALU_DEP_1) | instskip(NEXT) | instid1(VALU_DEP_1)
	v_cmp_ne_u32_e64 s2, 0x7f800000, v29
                                        ; implicit-def: $vgpr29
	s_and_saveexec_b32 s3, s2
	s_delay_alu instid0(SALU_CYCLE_1)
	s_xor_b32 s2, exec_lo, s3
; %bb.7:
	v_bfe_u32 v29, v43, 16, 1
	s_delay_alu instid0(VALU_DEP_1)
	v_add3_u32 v29, v43, v29, 0x7fff
                                        ; implicit-def: $vgpr43
; %bb.8:
	s_and_not1_saveexec_b32 s3, s2
; %bb.9:
	v_and_b32_e32 v29, 0xffff, v43
	v_or_b32_e32 v44, 0x10000, v43
	s_delay_alu instid0(VALU_DEP_2) | instskip(NEXT) | instid1(VALU_DEP_1)
	v_cmp_eq_u32_e64 s2, 0, v29
	v_cndmask_b32_e64 v29, v44, v43, s2
; %bb.10:
	s_or_b32 exec_lo, exec_lo, s3
	v_and_b32_e32 v43, 0xffff0000, v42
	v_lshlrev_b32_e32 v42, 16, v30
	s_delay_alu instid0(VALU_DEP_1) | instskip(NEXT) | instid1(VALU_DEP_1)
	v_fmac_f32_e32 v43, v42, v39
	v_and_b32_e32 v42, 0x7f800000, v43
	s_delay_alu instid0(VALU_DEP_1) | instskip(NEXT) | instid1(VALU_DEP_1)
	v_cmp_ne_u32_e64 s2, 0x7f800000, v42
                                        ; implicit-def: $vgpr42
	s_and_saveexec_b32 s3, s2
	s_delay_alu instid0(SALU_CYCLE_1)
	s_xor_b32 s2, exec_lo, s3
; %bb.11:
	v_bfe_u32 v42, v43, 16, 1
	s_delay_alu instid0(VALU_DEP_1)
	v_add3_u32 v42, v43, v42, 0x7fff
                                        ; implicit-def: $vgpr43
; %bb.12:
	s_and_not1_saveexec_b32 s3, s2
; %bb.13:
	v_and_b32_e32 v42, 0xffff, v43
	v_or_b32_e32 v44, 0x10000, v43
	s_delay_alu instid0(VALU_DEP_2) | instskip(NEXT) | instid1(VALU_DEP_1)
	v_cmp_eq_u32_e64 s2, 0, v42
	v_cndmask_b32_e64 v42, v44, v43, s2
; %bb.14:
	s_or_b32 exec_lo, exec_lo, s3
	v_and_b32_e32 v43, 0xffff0000, v29
	v_and_b32_e32 v29, 0xffff0000, v30
	s_delay_alu instid0(VALU_DEP_1) | instskip(NEXT) | instid1(VALU_DEP_1)
	v_fmac_f32_e32 v43, v29, v38
	v_and_b32_e32 v29, 0x7f800000, v43
	s_delay_alu instid0(VALU_DEP_1) | instskip(NEXT) | instid1(VALU_DEP_1)
	v_cmp_ne_u32_e64 s2, 0x7f800000, v29
                                        ; implicit-def: $vgpr29
	s_and_saveexec_b32 s3, s2
	s_delay_alu instid0(SALU_CYCLE_1)
	s_xor_b32 s2, exec_lo, s3
; %bb.15:
	v_bfe_u32 v29, v43, 16, 1
	s_delay_alu instid0(VALU_DEP_1)
	v_add3_u32 v29, v43, v29, 0x7fff
                                        ; implicit-def: $vgpr43
; %bb.16:
	s_and_not1_saveexec_b32 s3, s2
; %bb.17:
	v_and_b32_e32 v29, 0xffff, v43
	v_or_b32_e32 v30, 0x10000, v43
	s_delay_alu instid0(VALU_DEP_2) | instskip(NEXT) | instid1(VALU_DEP_1)
	v_cmp_eq_u32_e64 s2, 0, v29
	v_cndmask_b32_e64 v29, v30, v43, s2
; %bb.18:
	s_or_b32 exec_lo, exec_lo, s3
	v_and_b32_e32 v42, 0xffff0000, v42
	v_lshlrev_b32_e32 v30, 16, v31
	s_delay_alu instid0(VALU_DEP_1) | instskip(NEXT) | instid1(VALU_DEP_1)
	v_fmac_f32_e32 v42, v30, v37
	v_and_b32_e32 v30, 0x7f800000, v42
	s_delay_alu instid0(VALU_DEP_1) | instskip(NEXT) | instid1(VALU_DEP_1)
	v_cmp_ne_u32_e64 s2, 0x7f800000, v30
                                        ; implicit-def: $vgpr30
	s_and_saveexec_b32 s3, s2
	s_delay_alu instid0(SALU_CYCLE_1)
	s_xor_b32 s2, exec_lo, s3
; %bb.19:
	v_bfe_u32 v30, v42, 16, 1
	s_delay_alu instid0(VALU_DEP_1)
	v_add3_u32 v30, v42, v30, 0x7fff
                                        ; implicit-def: $vgpr42
; %bb.20:
	s_and_not1_saveexec_b32 s3, s2
; %bb.21:
	v_and_b32_e32 v30, 0xffff, v42
	v_or_b32_e32 v43, 0x10000, v42
	s_delay_alu instid0(VALU_DEP_2) | instskip(NEXT) | instid1(VALU_DEP_1)
	v_cmp_eq_u32_e64 s2, 0, v30
	v_cndmask_b32_e64 v30, v43, v42, s2
; %bb.22:
	s_or_b32 exec_lo, exec_lo, s3
	v_and_b32_e32 v29, 0xffff0000, v29
	v_and_b32_e32 v31, 0xffff0000, v31
	s_delay_alu instid0(VALU_DEP_1) | instskip(NEXT) | instid1(VALU_DEP_1)
	v_fmac_f32_e32 v29, v31, v36
	v_and_b32_e32 v31, 0x7f800000, v29
	s_delay_alu instid0(VALU_DEP_1) | instskip(NEXT) | instid1(VALU_DEP_1)
	v_cmp_ne_u32_e64 s2, 0x7f800000, v31
                                        ; implicit-def: $vgpr31
	s_and_saveexec_b32 s3, s2
	s_delay_alu instid0(SALU_CYCLE_1)
	s_xor_b32 s2, exec_lo, s3
; %bb.23:
	v_bfe_u32 v31, v29, 16, 1
	s_delay_alu instid0(VALU_DEP_1)
	v_add3_u32 v31, v29, v31, 0x7fff
                                        ; implicit-def: $vgpr29
; %bb.24:
	s_and_not1_saveexec_b32 s3, s2
; %bb.25:
	v_and_b32_e32 v31, 0xffff, v29
	v_or_b32_e32 v42, 0x10000, v29
	s_delay_alu instid0(VALU_DEP_2) | instskip(NEXT) | instid1(VALU_DEP_1)
	v_cmp_eq_u32_e64 s2, 0, v31
	v_cndmask_b32_e64 v31, v42, v29, s2
; %bb.26:
	s_or_b32 exec_lo, exec_lo, s3
	v_and_b32_e32 v30, 0xffff0000, v30
	v_lshlrev_b32_e32 v29, 16, v32
	s_delay_alu instid0(VALU_DEP_1) | instskip(NEXT) | instid1(VALU_DEP_1)
	v_fmac_f32_e32 v30, v29, v35
	v_and_b32_e32 v29, 0x7f800000, v30
	s_delay_alu instid0(VALU_DEP_1) | instskip(NEXT) | instid1(VALU_DEP_1)
	v_cmp_ne_u32_e64 s2, 0x7f800000, v29
                                        ; implicit-def: $vgpr29
	s_and_saveexec_b32 s3, s2
	s_delay_alu instid0(SALU_CYCLE_1)
	s_xor_b32 s2, exec_lo, s3
; %bb.27:
	v_bfe_u32 v29, v30, 16, 1
	s_delay_alu instid0(VALU_DEP_1)
	v_add3_u32 v29, v30, v29, 0x7fff
                                        ; implicit-def: $vgpr30
; %bb.28:
	s_and_not1_saveexec_b32 s3, s2
; %bb.29:
	v_and_b32_e32 v29, 0xffff, v30
	v_or_b32_e32 v42, 0x10000, v30
	s_delay_alu instid0(VALU_DEP_2) | instskip(NEXT) | instid1(VALU_DEP_1)
	v_cmp_eq_u32_e64 s2, 0, v29
	v_cndmask_b32_e64 v29, v42, v30, s2
; %bb.30:
	s_or_b32 exec_lo, exec_lo, s3
	v_and_b32_e32 v31, 0xffff0000, v31
	v_and_b32_e32 v30, 0xffff0000, v32
	s_delay_alu instid0(VALU_DEP_1) | instskip(NEXT) | instid1(VALU_DEP_1)
	v_fmac_f32_e32 v31, v30, v34
	v_and_b32_e32 v30, 0x7f800000, v31
	s_delay_alu instid0(VALU_DEP_1) | instskip(NEXT) | instid1(VALU_DEP_1)
	v_cmp_ne_u32_e64 s2, 0x7f800000, v30
                                        ; implicit-def: $vgpr30
	s_and_saveexec_b32 s3, s2
	s_delay_alu instid0(SALU_CYCLE_1)
	s_xor_b32 s2, exec_lo, s3
; %bb.31:
	v_bfe_u32 v30, v31, 16, 1
	s_delay_alu instid0(VALU_DEP_1)
	v_add3_u32 v30, v31, v30, 0x7fff
                                        ; implicit-def: $vgpr31
; %bb.32:
	s_and_not1_saveexec_b32 s3, s2
; %bb.33:
	v_and_b32_e32 v30, 0xffff, v31
	v_or_b32_e32 v32, 0x10000, v31
	s_delay_alu instid0(VALU_DEP_2) | instskip(NEXT) | instid1(VALU_DEP_1)
	v_cmp_eq_u32_e64 s2, 0, v30
	v_cndmask_b32_e64 v30, v32, v31, s2
; %bb.34:
	s_or_b32 exec_lo, exec_lo, s3
	v_lshlrev_b32_e32 v31, 16, v25
	s_delay_alu instid0(VALU_DEP_1) | instskip(NEXT) | instid1(VALU_DEP_1)
	v_mul_f32_e32 v32, v41, v31
	v_and_b32_e32 v31, 0x7f800000, v32
	s_delay_alu instid0(VALU_DEP_1) | instskip(NEXT) | instid1(VALU_DEP_1)
	v_cmp_ne_u32_e64 s2, 0x7f800000, v31
                                        ; implicit-def: $vgpr31
	s_and_saveexec_b32 s3, s2
	s_delay_alu instid0(SALU_CYCLE_1)
	s_xor_b32 s2, exec_lo, s3
; %bb.35:
	v_bfe_u32 v31, v32, 16, 1
	s_delay_alu instid0(VALU_DEP_1)
	v_add3_u32 v31, v32, v31, 0x7fff
                                        ; implicit-def: $vgpr32
; %bb.36:
	s_and_not1_saveexec_b32 s3, s2
; %bb.37:
	v_and_b32_e32 v31, 0xffff, v32
	v_or_b32_e32 v42, 0x10000, v32
	s_delay_alu instid0(VALU_DEP_2) | instskip(NEXT) | instid1(VALU_DEP_1)
	v_cmp_eq_u32_e64 s2, 0, v31
	v_cndmask_b32_e64 v31, v42, v32, s2
; %bb.38:
	s_or_b32 exec_lo, exec_lo, s3
	v_and_b32_e32 v25, 0xffff0000, v25
	s_delay_alu instid0(VALU_DEP_1) | instskip(NEXT) | instid1(VALU_DEP_1)
	v_mul_f32_e32 v32, v40, v25
	v_and_b32_e32 v25, 0x7f800000, v32
	s_delay_alu instid0(VALU_DEP_1) | instskip(NEXT) | instid1(VALU_DEP_1)
	v_cmp_ne_u32_e64 s2, 0x7f800000, v25
                                        ; implicit-def: $vgpr25
	s_and_saveexec_b32 s3, s2
	s_delay_alu instid0(SALU_CYCLE_1)
	s_xor_b32 s2, exec_lo, s3
; %bb.39:
	v_bfe_u32 v25, v32, 16, 1
	s_delay_alu instid0(VALU_DEP_1)
	v_add3_u32 v25, v32, v25, 0x7fff
                                        ; implicit-def: $vgpr32
; %bb.40:
	s_and_not1_saveexec_b32 s3, s2
; %bb.41:
	v_and_b32_e32 v25, 0xffff, v32
	v_or_b32_e32 v42, 0x10000, v32
	s_delay_alu instid0(VALU_DEP_2) | instskip(NEXT) | instid1(VALU_DEP_1)
	v_cmp_eq_u32_e64 s2, 0, v25
	v_cndmask_b32_e64 v25, v42, v32, s2
; %bb.42:
	s_or_b32 exec_lo, exec_lo, s3
	v_and_b32_e32 v32, 0xffff0000, v31
	v_lshlrev_b32_e32 v31, 16, v26
	s_delay_alu instid0(VALU_DEP_1) | instskip(NEXT) | instid1(VALU_DEP_1)
	v_fmac_f32_e32 v32, v31, v39
	v_and_b32_e32 v31, 0x7f800000, v32
	s_delay_alu instid0(VALU_DEP_1) | instskip(NEXT) | instid1(VALU_DEP_1)
	v_cmp_ne_u32_e64 s2, 0x7f800000, v31
                                        ; implicit-def: $vgpr31
	s_and_saveexec_b32 s3, s2
	s_delay_alu instid0(SALU_CYCLE_1)
	s_xor_b32 s2, exec_lo, s3
; %bb.43:
	v_bfe_u32 v31, v32, 16, 1
	s_delay_alu instid0(VALU_DEP_1)
	v_add3_u32 v31, v32, v31, 0x7fff
                                        ; implicit-def: $vgpr32
; %bb.44:
	s_and_not1_saveexec_b32 s3, s2
; %bb.45:
	v_and_b32_e32 v31, 0xffff, v32
	v_or_b32_e32 v42, 0x10000, v32
	s_delay_alu instid0(VALU_DEP_2) | instskip(NEXT) | instid1(VALU_DEP_1)
	v_cmp_eq_u32_e64 s2, 0, v31
	v_cndmask_b32_e64 v31, v42, v32, s2
; %bb.46:
	s_or_b32 exec_lo, exec_lo, s3
	v_and_b32_e32 v32, 0xffff0000, v25
	v_and_b32_e32 v25, 0xffff0000, v26
	s_delay_alu instid0(VALU_DEP_1) | instskip(NEXT) | instid1(VALU_DEP_1)
	v_fmac_f32_e32 v32, v25, v38
	v_and_b32_e32 v25, 0x7f800000, v32
	s_delay_alu instid0(VALU_DEP_1) | instskip(NEXT) | instid1(VALU_DEP_1)
	v_cmp_ne_u32_e64 s2, 0x7f800000, v25
                                        ; implicit-def: $vgpr25
	s_and_saveexec_b32 s3, s2
	s_delay_alu instid0(SALU_CYCLE_1)
	s_xor_b32 s2, exec_lo, s3
; %bb.47:
	v_bfe_u32 v25, v32, 16, 1
	s_delay_alu instid0(VALU_DEP_1)
	v_add3_u32 v25, v32, v25, 0x7fff
                                        ; implicit-def: $vgpr32
; %bb.48:
	s_and_not1_saveexec_b32 s3, s2
; %bb.49:
	v_and_b32_e32 v25, 0xffff, v32
	v_or_b32_e32 v26, 0x10000, v32
	s_delay_alu instid0(VALU_DEP_2) | instskip(NEXT) | instid1(VALU_DEP_1)
	v_cmp_eq_u32_e64 s2, 0, v25
	v_cndmask_b32_e64 v25, v26, v32, s2
; %bb.50:
	s_or_b32 exec_lo, exec_lo, s3
	v_and_b32_e32 v31, 0xffff0000, v31
	v_lshlrev_b32_e32 v26, 16, v27
	s_delay_alu instid0(VALU_DEP_1) | instskip(NEXT) | instid1(VALU_DEP_1)
	v_fmac_f32_e32 v31, v26, v37
	v_and_b32_e32 v26, 0x7f800000, v31
	s_delay_alu instid0(VALU_DEP_1) | instskip(NEXT) | instid1(VALU_DEP_1)
	v_cmp_ne_u32_e64 s2, 0x7f800000, v26
                                        ; implicit-def: $vgpr26
	s_and_saveexec_b32 s3, s2
	s_delay_alu instid0(SALU_CYCLE_1)
	s_xor_b32 s2, exec_lo, s3
; %bb.51:
	v_bfe_u32 v26, v31, 16, 1
	s_delay_alu instid0(VALU_DEP_1)
	v_add3_u32 v26, v31, v26, 0x7fff
                                        ; implicit-def: $vgpr31
; %bb.52:
	s_and_not1_saveexec_b32 s3, s2
; %bb.53:
	v_and_b32_e32 v26, 0xffff, v31
	v_or_b32_e32 v32, 0x10000, v31
	s_delay_alu instid0(VALU_DEP_2) | instskip(NEXT) | instid1(VALU_DEP_1)
	v_cmp_eq_u32_e64 s2, 0, v26
	v_cndmask_b32_e64 v26, v32, v31, s2
; %bb.54:
	s_or_b32 exec_lo, exec_lo, s3
	v_and_b32_e32 v25, 0xffff0000, v25
	v_and_b32_e32 v27, 0xffff0000, v27
	s_delay_alu instid0(VALU_DEP_1) | instskip(NEXT) | instid1(VALU_DEP_1)
	v_fmac_f32_e32 v25, v27, v36
	v_and_b32_e32 v27, 0x7f800000, v25
	s_delay_alu instid0(VALU_DEP_1) | instskip(NEXT) | instid1(VALU_DEP_1)
	v_cmp_ne_u32_e64 s2, 0x7f800000, v27
                                        ; implicit-def: $vgpr27
	s_and_saveexec_b32 s3, s2
	s_delay_alu instid0(SALU_CYCLE_1)
	s_xor_b32 s2, exec_lo, s3
; %bb.55:
	v_bfe_u32 v27, v25, 16, 1
	s_delay_alu instid0(VALU_DEP_1)
	v_add3_u32 v27, v25, v27, 0x7fff
                                        ; implicit-def: $vgpr25
; %bb.56:
	s_and_not1_saveexec_b32 s3, s2
; %bb.57:
	v_and_b32_e32 v27, 0xffff, v25
	v_or_b32_e32 v31, 0x10000, v25
	s_delay_alu instid0(VALU_DEP_2) | instskip(NEXT) | instid1(VALU_DEP_1)
	v_cmp_eq_u32_e64 s2, 0, v27
	v_cndmask_b32_e64 v27, v31, v25, s2
; %bb.58:
	s_or_b32 exec_lo, exec_lo, s3
	v_and_b32_e32 v26, 0xffff0000, v26
	v_lshlrev_b32_e32 v25, 16, v28
	s_delay_alu instid0(VALU_DEP_1) | instskip(NEXT) | instid1(VALU_DEP_1)
	v_fmac_f32_e32 v26, v25, v35
	v_and_b32_e32 v25, 0x7f800000, v26
	s_delay_alu instid0(VALU_DEP_1) | instskip(NEXT) | instid1(VALU_DEP_1)
	v_cmp_ne_u32_e64 s2, 0x7f800000, v25
                                        ; implicit-def: $vgpr25
	s_and_saveexec_b32 s3, s2
	s_delay_alu instid0(SALU_CYCLE_1)
	s_xor_b32 s2, exec_lo, s3
; %bb.59:
	v_bfe_u32 v25, v26, 16, 1
	s_delay_alu instid0(VALU_DEP_1)
	v_add3_u32 v25, v26, v25, 0x7fff
                                        ; implicit-def: $vgpr26
; %bb.60:
	s_and_not1_saveexec_b32 s3, s2
; %bb.61:
	v_and_b32_e32 v25, 0xffff, v26
	v_or_b32_e32 v31, 0x10000, v26
	s_delay_alu instid0(VALU_DEP_2) | instskip(NEXT) | instid1(VALU_DEP_1)
	v_cmp_eq_u32_e64 s2, 0, v25
	v_cndmask_b32_e64 v25, v31, v26, s2
; %bb.62:
	s_or_b32 exec_lo, exec_lo, s3
	v_and_b32_e32 v27, 0xffff0000, v27
	v_and_b32_e32 v26, 0xffff0000, v28
	s_delay_alu instid0(VALU_DEP_1) | instskip(NEXT) | instid1(VALU_DEP_1)
	v_fmac_f32_e32 v27, v26, v34
	v_and_b32_e32 v26, 0x7f800000, v27
	s_delay_alu instid0(VALU_DEP_1) | instskip(NEXT) | instid1(VALU_DEP_1)
	v_cmp_ne_u32_e64 s2, 0x7f800000, v26
                                        ; implicit-def: $vgpr26
	s_and_saveexec_b32 s3, s2
	s_delay_alu instid0(SALU_CYCLE_1)
	s_xor_b32 s2, exec_lo, s3
; %bb.63:
	v_bfe_u32 v26, v27, 16, 1
	s_delay_alu instid0(VALU_DEP_1)
	v_add3_u32 v26, v27, v26, 0x7fff
                                        ; implicit-def: $vgpr27
; %bb.64:
	s_and_not1_saveexec_b32 s3, s2
; %bb.65:
	v_and_b32_e32 v26, 0xffff, v27
	v_or_b32_e32 v28, 0x10000, v27
	s_delay_alu instid0(VALU_DEP_2) | instskip(NEXT) | instid1(VALU_DEP_1)
	v_cmp_eq_u32_e64 s2, 0, v26
	v_cndmask_b32_e64 v26, v28, v27, s2
; %bb.66:
	s_or_b32 exec_lo, exec_lo, s3
	s_waitcnt vmcnt(5)
	v_lshlrev_b32_e32 v27, 16, v21
	s_delay_alu instid0(VALU_DEP_1) | instskip(NEXT) | instid1(VALU_DEP_1)
	v_mul_f32_e32 v28, v41, v27
	v_and_b32_e32 v27, 0x7f800000, v28
	s_delay_alu instid0(VALU_DEP_1) | instskip(NEXT) | instid1(VALU_DEP_1)
	v_cmp_ne_u32_e64 s2, 0x7f800000, v27
                                        ; implicit-def: $vgpr27
	s_and_saveexec_b32 s3, s2
	s_delay_alu instid0(SALU_CYCLE_1)
	s_xor_b32 s2, exec_lo, s3
; %bb.67:
	v_bfe_u32 v27, v28, 16, 1
	s_delay_alu instid0(VALU_DEP_1)
	v_add3_u32 v27, v28, v27, 0x7fff
                                        ; implicit-def: $vgpr28
; %bb.68:
	s_and_not1_saveexec_b32 s3, s2
; %bb.69:
	v_and_b32_e32 v27, 0xffff, v28
	v_or_b32_e32 v31, 0x10000, v28
	s_delay_alu instid0(VALU_DEP_2) | instskip(NEXT) | instid1(VALU_DEP_1)
	v_cmp_eq_u32_e64 s2, 0, v27
	v_cndmask_b32_e64 v27, v31, v28, s2
; %bb.70:
	s_or_b32 exec_lo, exec_lo, s3
	v_and_b32_e32 v21, 0xffff0000, v21
	s_delay_alu instid0(VALU_DEP_1) | instskip(NEXT) | instid1(VALU_DEP_1)
	v_mul_f32_e32 v28, v40, v21
	v_and_b32_e32 v21, 0x7f800000, v28
	s_delay_alu instid0(VALU_DEP_1) | instskip(NEXT) | instid1(VALU_DEP_1)
	v_cmp_ne_u32_e64 s2, 0x7f800000, v21
                                        ; implicit-def: $vgpr21
	s_and_saveexec_b32 s3, s2
	s_delay_alu instid0(SALU_CYCLE_1)
	s_xor_b32 s2, exec_lo, s3
; %bb.71:
	v_bfe_u32 v21, v28, 16, 1
	s_delay_alu instid0(VALU_DEP_1)
	v_add3_u32 v21, v28, v21, 0x7fff
                                        ; implicit-def: $vgpr28
; %bb.72:
	s_and_not1_saveexec_b32 s3, s2
; %bb.73:
	v_and_b32_e32 v21, 0xffff, v28
	v_or_b32_e32 v31, 0x10000, v28
	s_delay_alu instid0(VALU_DEP_2) | instskip(NEXT) | instid1(VALU_DEP_1)
	v_cmp_eq_u32_e64 s2, 0, v21
	v_cndmask_b32_e64 v21, v31, v28, s2
; %bb.74:
	s_or_b32 exec_lo, exec_lo, s3
	v_and_b32_e32 v28, 0xffff0000, v27
	v_lshlrev_b32_e32 v27, 16, v22
	s_delay_alu instid0(VALU_DEP_1) | instskip(NEXT) | instid1(VALU_DEP_1)
	v_fmac_f32_e32 v28, v27, v39
	v_and_b32_e32 v27, 0x7f800000, v28
	s_delay_alu instid0(VALU_DEP_1) | instskip(NEXT) | instid1(VALU_DEP_1)
	v_cmp_ne_u32_e64 s2, 0x7f800000, v27
                                        ; implicit-def: $vgpr27
	s_and_saveexec_b32 s3, s2
	s_delay_alu instid0(SALU_CYCLE_1)
	s_xor_b32 s2, exec_lo, s3
; %bb.75:
	v_bfe_u32 v27, v28, 16, 1
	s_delay_alu instid0(VALU_DEP_1)
	v_add3_u32 v27, v28, v27, 0x7fff
                                        ; implicit-def: $vgpr28
; %bb.76:
	s_and_not1_saveexec_b32 s3, s2
; %bb.77:
	v_and_b32_e32 v27, 0xffff, v28
	v_or_b32_e32 v31, 0x10000, v28
	s_delay_alu instid0(VALU_DEP_2) | instskip(NEXT) | instid1(VALU_DEP_1)
	v_cmp_eq_u32_e64 s2, 0, v27
	v_cndmask_b32_e64 v27, v31, v28, s2
; %bb.78:
	s_or_b32 exec_lo, exec_lo, s3
	v_and_b32_e32 v28, 0xffff0000, v21
	v_and_b32_e32 v21, 0xffff0000, v22
	s_delay_alu instid0(VALU_DEP_1) | instskip(NEXT) | instid1(VALU_DEP_1)
	v_fmac_f32_e32 v28, v21, v38
	v_and_b32_e32 v21, 0x7f800000, v28
	s_delay_alu instid0(VALU_DEP_1) | instskip(NEXT) | instid1(VALU_DEP_1)
	v_cmp_ne_u32_e64 s2, 0x7f800000, v21
                                        ; implicit-def: $vgpr21
	s_and_saveexec_b32 s3, s2
	s_delay_alu instid0(SALU_CYCLE_1)
	s_xor_b32 s2, exec_lo, s3
; %bb.79:
	v_bfe_u32 v21, v28, 16, 1
	s_delay_alu instid0(VALU_DEP_1)
	v_add3_u32 v21, v28, v21, 0x7fff
                                        ; implicit-def: $vgpr28
; %bb.80:
	s_and_not1_saveexec_b32 s3, s2
; %bb.81:
	v_and_b32_e32 v21, 0xffff, v28
	v_or_b32_e32 v22, 0x10000, v28
	s_delay_alu instid0(VALU_DEP_2) | instskip(NEXT) | instid1(VALU_DEP_1)
	v_cmp_eq_u32_e64 s2, 0, v21
	v_cndmask_b32_e64 v21, v22, v28, s2
; %bb.82:
	s_or_b32 exec_lo, exec_lo, s3
	v_and_b32_e32 v27, 0xffff0000, v27
	v_lshlrev_b32_e32 v22, 16, v23
	s_delay_alu instid0(VALU_DEP_1) | instskip(NEXT) | instid1(VALU_DEP_1)
	v_fmac_f32_e32 v27, v22, v37
	v_and_b32_e32 v22, 0x7f800000, v27
	s_delay_alu instid0(VALU_DEP_1) | instskip(NEXT) | instid1(VALU_DEP_1)
	v_cmp_ne_u32_e64 s2, 0x7f800000, v22
                                        ; implicit-def: $vgpr22
	s_and_saveexec_b32 s3, s2
	s_delay_alu instid0(SALU_CYCLE_1)
	s_xor_b32 s2, exec_lo, s3
; %bb.83:
	v_bfe_u32 v22, v27, 16, 1
	s_delay_alu instid0(VALU_DEP_1)
	v_add3_u32 v22, v27, v22, 0x7fff
                                        ; implicit-def: $vgpr27
; %bb.84:
	s_and_not1_saveexec_b32 s3, s2
; %bb.85:
	v_and_b32_e32 v22, 0xffff, v27
	v_or_b32_e32 v28, 0x10000, v27
	s_delay_alu instid0(VALU_DEP_2) | instskip(NEXT) | instid1(VALU_DEP_1)
	v_cmp_eq_u32_e64 s2, 0, v22
	v_cndmask_b32_e64 v22, v28, v27, s2
; %bb.86:
	s_or_b32 exec_lo, exec_lo, s3
	v_and_b32_e32 v21, 0xffff0000, v21
	v_and_b32_e32 v23, 0xffff0000, v23
	s_delay_alu instid0(VALU_DEP_1) | instskip(NEXT) | instid1(VALU_DEP_1)
	v_fmac_f32_e32 v21, v23, v36
	v_and_b32_e32 v23, 0x7f800000, v21
	s_delay_alu instid0(VALU_DEP_1) | instskip(NEXT) | instid1(VALU_DEP_1)
	v_cmp_ne_u32_e64 s2, 0x7f800000, v23
                                        ; implicit-def: $vgpr23
	s_and_saveexec_b32 s3, s2
	s_delay_alu instid0(SALU_CYCLE_1)
	s_xor_b32 s2, exec_lo, s3
; %bb.87:
	v_bfe_u32 v23, v21, 16, 1
	s_delay_alu instid0(VALU_DEP_1)
	v_add3_u32 v23, v21, v23, 0x7fff
                                        ; implicit-def: $vgpr21
; %bb.88:
	s_and_not1_saveexec_b32 s3, s2
; %bb.89:
	v_and_b32_e32 v23, 0xffff, v21
	v_or_b32_e32 v27, 0x10000, v21
	s_delay_alu instid0(VALU_DEP_2) | instskip(NEXT) | instid1(VALU_DEP_1)
	v_cmp_eq_u32_e64 s2, 0, v23
	v_cndmask_b32_e64 v23, v27, v21, s2
; %bb.90:
	s_or_b32 exec_lo, exec_lo, s3
	v_and_b32_e32 v22, 0xffff0000, v22
	v_lshlrev_b32_e32 v21, 16, v24
	s_delay_alu instid0(VALU_DEP_1) | instskip(NEXT) | instid1(VALU_DEP_1)
	v_fmac_f32_e32 v22, v21, v35
	v_and_b32_e32 v21, 0x7f800000, v22
	s_delay_alu instid0(VALU_DEP_1) | instskip(NEXT) | instid1(VALU_DEP_1)
	v_cmp_ne_u32_e64 s2, 0x7f800000, v21
                                        ; implicit-def: $vgpr21
	s_and_saveexec_b32 s3, s2
	s_delay_alu instid0(SALU_CYCLE_1)
	s_xor_b32 s2, exec_lo, s3
; %bb.91:
	v_bfe_u32 v21, v22, 16, 1
	s_delay_alu instid0(VALU_DEP_1)
	v_add3_u32 v21, v22, v21, 0x7fff
                                        ; implicit-def: $vgpr22
; %bb.92:
	s_and_not1_saveexec_b32 s3, s2
; %bb.93:
	v_and_b32_e32 v21, 0xffff, v22
	v_or_b32_e32 v27, 0x10000, v22
	s_delay_alu instid0(VALU_DEP_2) | instskip(NEXT) | instid1(VALU_DEP_1)
	v_cmp_eq_u32_e64 s2, 0, v21
	v_cndmask_b32_e64 v21, v27, v22, s2
; %bb.94:
	s_or_b32 exec_lo, exec_lo, s3
	v_and_b32_e32 v23, 0xffff0000, v23
	v_and_b32_e32 v22, 0xffff0000, v24
	s_delay_alu instid0(VALU_DEP_1) | instskip(NEXT) | instid1(VALU_DEP_1)
	v_fmac_f32_e32 v23, v22, v34
	v_and_b32_e32 v22, 0x7f800000, v23
	s_delay_alu instid0(VALU_DEP_1) | instskip(NEXT) | instid1(VALU_DEP_1)
	v_cmp_ne_u32_e64 s2, 0x7f800000, v22
                                        ; implicit-def: $vgpr22
	s_and_saveexec_b32 s3, s2
	s_delay_alu instid0(SALU_CYCLE_1)
	s_xor_b32 s2, exec_lo, s3
; %bb.95:
	v_bfe_u32 v22, v23, 16, 1
	s_delay_alu instid0(VALU_DEP_1)
	v_add3_u32 v22, v23, v22, 0x7fff
                                        ; implicit-def: $vgpr23
; %bb.96:
	s_and_not1_saveexec_b32 s3, s2
; %bb.97:
	v_and_b32_e32 v22, 0xffff, v23
	v_or_b32_e32 v24, 0x10000, v23
	s_delay_alu instid0(VALU_DEP_2) | instskip(NEXT) | instid1(VALU_DEP_1)
	v_cmp_eq_u32_e64 s2, 0, v22
	v_cndmask_b32_e64 v22, v24, v23, s2
; %bb.98:
	s_or_b32 exec_lo, exec_lo, s3
	s_waitcnt vmcnt(4)
	v_lshlrev_b32_e32 v23, 16, v17
	s_delay_alu instid0(VALU_DEP_1) | instskip(NEXT) | instid1(VALU_DEP_1)
	v_mul_f32_e32 v24, v41, v23
	v_and_b32_e32 v23, 0x7f800000, v24
	s_delay_alu instid0(VALU_DEP_1) | instskip(NEXT) | instid1(VALU_DEP_1)
	v_cmp_ne_u32_e64 s2, 0x7f800000, v23
                                        ; implicit-def: $vgpr23
	s_and_saveexec_b32 s3, s2
	s_delay_alu instid0(SALU_CYCLE_1)
	s_xor_b32 s2, exec_lo, s3
; %bb.99:
	v_bfe_u32 v23, v24, 16, 1
	s_delay_alu instid0(VALU_DEP_1)
	v_add3_u32 v23, v24, v23, 0x7fff
                                        ; implicit-def: $vgpr24
; %bb.100:
	s_and_not1_saveexec_b32 s3, s2
; %bb.101:
	v_and_b32_e32 v23, 0xffff, v24
	v_or_b32_e32 v27, 0x10000, v24
	s_delay_alu instid0(VALU_DEP_2) | instskip(NEXT) | instid1(VALU_DEP_1)
	v_cmp_eq_u32_e64 s2, 0, v23
	v_cndmask_b32_e64 v23, v27, v24, s2
; %bb.102:
	s_or_b32 exec_lo, exec_lo, s3
	v_and_b32_e32 v17, 0xffff0000, v17
	s_delay_alu instid0(VALU_DEP_1) | instskip(NEXT) | instid1(VALU_DEP_1)
	v_mul_f32_e32 v24, v40, v17
	v_and_b32_e32 v17, 0x7f800000, v24
	s_delay_alu instid0(VALU_DEP_1) | instskip(NEXT) | instid1(VALU_DEP_1)
	v_cmp_ne_u32_e64 s2, 0x7f800000, v17
                                        ; implicit-def: $vgpr17
	s_and_saveexec_b32 s3, s2
	s_delay_alu instid0(SALU_CYCLE_1)
	s_xor_b32 s2, exec_lo, s3
; %bb.103:
	v_bfe_u32 v17, v24, 16, 1
	s_delay_alu instid0(VALU_DEP_1)
	v_add3_u32 v17, v24, v17, 0x7fff
                                        ; implicit-def: $vgpr24
; %bb.104:
	s_and_not1_saveexec_b32 s3, s2
; %bb.105:
	v_and_b32_e32 v17, 0xffff, v24
	v_or_b32_e32 v27, 0x10000, v24
	s_delay_alu instid0(VALU_DEP_2) | instskip(NEXT) | instid1(VALU_DEP_1)
	v_cmp_eq_u32_e64 s2, 0, v17
	v_cndmask_b32_e64 v17, v27, v24, s2
; %bb.106:
	s_or_b32 exec_lo, exec_lo, s3
	v_and_b32_e32 v24, 0xffff0000, v23
	v_lshlrev_b32_e32 v23, 16, v18
	s_delay_alu instid0(VALU_DEP_1) | instskip(NEXT) | instid1(VALU_DEP_1)
	v_fmac_f32_e32 v24, v23, v39
	v_and_b32_e32 v23, 0x7f800000, v24
	s_delay_alu instid0(VALU_DEP_1) | instskip(NEXT) | instid1(VALU_DEP_1)
	v_cmp_ne_u32_e64 s2, 0x7f800000, v23
                                        ; implicit-def: $vgpr23
	s_and_saveexec_b32 s3, s2
	s_delay_alu instid0(SALU_CYCLE_1)
	s_xor_b32 s2, exec_lo, s3
; %bb.107:
	v_bfe_u32 v23, v24, 16, 1
	s_delay_alu instid0(VALU_DEP_1)
	v_add3_u32 v23, v24, v23, 0x7fff
                                        ; implicit-def: $vgpr24
; %bb.108:
	s_and_not1_saveexec_b32 s3, s2
; %bb.109:
	v_and_b32_e32 v23, 0xffff, v24
	v_or_b32_e32 v27, 0x10000, v24
	s_delay_alu instid0(VALU_DEP_2) | instskip(NEXT) | instid1(VALU_DEP_1)
	v_cmp_eq_u32_e64 s2, 0, v23
	v_cndmask_b32_e64 v23, v27, v24, s2
; %bb.110:
	s_or_b32 exec_lo, exec_lo, s3
	v_and_b32_e32 v24, 0xffff0000, v17
	v_and_b32_e32 v17, 0xffff0000, v18
	s_delay_alu instid0(VALU_DEP_1) | instskip(NEXT) | instid1(VALU_DEP_1)
	v_fmac_f32_e32 v24, v17, v38
	v_and_b32_e32 v17, 0x7f800000, v24
	s_delay_alu instid0(VALU_DEP_1) | instskip(NEXT) | instid1(VALU_DEP_1)
	v_cmp_ne_u32_e64 s2, 0x7f800000, v17
                                        ; implicit-def: $vgpr17
	s_and_saveexec_b32 s3, s2
	s_delay_alu instid0(SALU_CYCLE_1)
	s_xor_b32 s2, exec_lo, s3
; %bb.111:
	v_bfe_u32 v17, v24, 16, 1
	s_delay_alu instid0(VALU_DEP_1)
	v_add3_u32 v17, v24, v17, 0x7fff
                                        ; implicit-def: $vgpr24
; %bb.112:
	s_and_not1_saveexec_b32 s3, s2
; %bb.113:
	v_and_b32_e32 v17, 0xffff, v24
	v_or_b32_e32 v18, 0x10000, v24
	s_delay_alu instid0(VALU_DEP_2) | instskip(NEXT) | instid1(VALU_DEP_1)
	v_cmp_eq_u32_e64 s2, 0, v17
	v_cndmask_b32_e64 v17, v18, v24, s2
; %bb.114:
	s_or_b32 exec_lo, exec_lo, s3
	v_and_b32_e32 v23, 0xffff0000, v23
	v_lshlrev_b32_e32 v18, 16, v19
	s_delay_alu instid0(VALU_DEP_1) | instskip(NEXT) | instid1(VALU_DEP_1)
	v_fmac_f32_e32 v23, v18, v37
	v_and_b32_e32 v18, 0x7f800000, v23
	s_delay_alu instid0(VALU_DEP_1) | instskip(NEXT) | instid1(VALU_DEP_1)
	v_cmp_ne_u32_e64 s2, 0x7f800000, v18
                                        ; implicit-def: $vgpr18
	s_and_saveexec_b32 s3, s2
	s_delay_alu instid0(SALU_CYCLE_1)
	s_xor_b32 s2, exec_lo, s3
; %bb.115:
	v_bfe_u32 v18, v23, 16, 1
	s_delay_alu instid0(VALU_DEP_1)
	v_add3_u32 v18, v23, v18, 0x7fff
                                        ; implicit-def: $vgpr23
; %bb.116:
	s_and_not1_saveexec_b32 s3, s2
; %bb.117:
	v_and_b32_e32 v18, 0xffff, v23
	v_or_b32_e32 v24, 0x10000, v23
	s_delay_alu instid0(VALU_DEP_2) | instskip(NEXT) | instid1(VALU_DEP_1)
	v_cmp_eq_u32_e64 s2, 0, v18
	v_cndmask_b32_e64 v18, v24, v23, s2
; %bb.118:
	s_or_b32 exec_lo, exec_lo, s3
	v_and_b32_e32 v17, 0xffff0000, v17
	v_and_b32_e32 v19, 0xffff0000, v19
	s_delay_alu instid0(VALU_DEP_1) | instskip(NEXT) | instid1(VALU_DEP_1)
	v_fmac_f32_e32 v17, v19, v36
	v_and_b32_e32 v19, 0x7f800000, v17
	s_delay_alu instid0(VALU_DEP_1) | instskip(NEXT) | instid1(VALU_DEP_1)
	v_cmp_ne_u32_e64 s2, 0x7f800000, v19
                                        ; implicit-def: $vgpr19
	s_and_saveexec_b32 s3, s2
	s_delay_alu instid0(SALU_CYCLE_1)
	s_xor_b32 s2, exec_lo, s3
; %bb.119:
	v_bfe_u32 v19, v17, 16, 1
	s_delay_alu instid0(VALU_DEP_1)
	v_add3_u32 v19, v17, v19, 0x7fff
                                        ; implicit-def: $vgpr17
; %bb.120:
	s_and_not1_saveexec_b32 s3, s2
; %bb.121:
	v_and_b32_e32 v19, 0xffff, v17
	v_or_b32_e32 v23, 0x10000, v17
	s_delay_alu instid0(VALU_DEP_2) | instskip(NEXT) | instid1(VALU_DEP_1)
	v_cmp_eq_u32_e64 s2, 0, v19
	v_cndmask_b32_e64 v19, v23, v17, s2
; %bb.122:
	s_or_b32 exec_lo, exec_lo, s3
	v_and_b32_e32 v18, 0xffff0000, v18
	v_lshlrev_b32_e32 v17, 16, v20
	s_delay_alu instid0(VALU_DEP_1) | instskip(NEXT) | instid1(VALU_DEP_1)
	v_fmac_f32_e32 v18, v17, v35
	v_and_b32_e32 v17, 0x7f800000, v18
	s_delay_alu instid0(VALU_DEP_1) | instskip(NEXT) | instid1(VALU_DEP_1)
	v_cmp_ne_u32_e64 s2, 0x7f800000, v17
                                        ; implicit-def: $vgpr17
	s_and_saveexec_b32 s3, s2
	s_delay_alu instid0(SALU_CYCLE_1)
	s_xor_b32 s2, exec_lo, s3
; %bb.123:
	v_bfe_u32 v17, v18, 16, 1
	s_delay_alu instid0(VALU_DEP_1)
	v_add3_u32 v17, v18, v17, 0x7fff
                                        ; implicit-def: $vgpr18
; %bb.124:
	s_and_not1_saveexec_b32 s3, s2
; %bb.125:
	v_and_b32_e32 v17, 0xffff, v18
	v_or_b32_e32 v23, 0x10000, v18
	s_delay_alu instid0(VALU_DEP_2) | instskip(NEXT) | instid1(VALU_DEP_1)
	v_cmp_eq_u32_e64 s2, 0, v17
	v_cndmask_b32_e64 v17, v23, v18, s2
; %bb.126:
	s_or_b32 exec_lo, exec_lo, s3
	v_and_b32_e32 v19, 0xffff0000, v19
	v_and_b32_e32 v18, 0xffff0000, v20
	s_delay_alu instid0(VALU_DEP_1) | instskip(NEXT) | instid1(VALU_DEP_1)
	v_fmac_f32_e32 v19, v18, v34
	v_and_b32_e32 v18, 0x7f800000, v19
	s_delay_alu instid0(VALU_DEP_1) | instskip(NEXT) | instid1(VALU_DEP_1)
	v_cmp_ne_u32_e64 s2, 0x7f800000, v18
                                        ; implicit-def: $vgpr18
	s_and_saveexec_b32 s3, s2
	s_delay_alu instid0(SALU_CYCLE_1)
	s_xor_b32 s2, exec_lo, s3
; %bb.127:
	v_bfe_u32 v18, v19, 16, 1
	s_delay_alu instid0(VALU_DEP_1)
	v_add3_u32 v18, v19, v18, 0x7fff
                                        ; implicit-def: $vgpr19
; %bb.128:
	s_and_not1_saveexec_b32 s3, s2
; %bb.129:
	v_and_b32_e32 v18, 0xffff, v19
	v_or_b32_e32 v20, 0x10000, v19
	s_delay_alu instid0(VALU_DEP_2) | instskip(NEXT) | instid1(VALU_DEP_1)
	v_cmp_eq_u32_e64 s2, 0, v18
	v_cndmask_b32_e64 v18, v20, v19, s2
; %bb.130:
	s_or_b32 exec_lo, exec_lo, s3
	s_waitcnt vmcnt(3)
	v_lshlrev_b32_e32 v19, 16, v13
	s_delay_alu instid0(VALU_DEP_1) | instskip(NEXT) | instid1(VALU_DEP_1)
	v_mul_f32_e32 v20, v41, v19
	v_and_b32_e32 v19, 0x7f800000, v20
	s_delay_alu instid0(VALU_DEP_1) | instskip(NEXT) | instid1(VALU_DEP_1)
	v_cmp_ne_u32_e64 s2, 0x7f800000, v19
                                        ; implicit-def: $vgpr19
	s_and_saveexec_b32 s3, s2
	s_delay_alu instid0(SALU_CYCLE_1)
	s_xor_b32 s2, exec_lo, s3
; %bb.131:
	v_bfe_u32 v19, v20, 16, 1
	s_delay_alu instid0(VALU_DEP_1)
	v_add3_u32 v19, v20, v19, 0x7fff
                                        ; implicit-def: $vgpr20
; %bb.132:
	s_and_not1_saveexec_b32 s3, s2
; %bb.133:
	v_and_b32_e32 v19, 0xffff, v20
	v_or_b32_e32 v23, 0x10000, v20
	s_delay_alu instid0(VALU_DEP_2) | instskip(NEXT) | instid1(VALU_DEP_1)
	v_cmp_eq_u32_e64 s2, 0, v19
	v_cndmask_b32_e64 v19, v23, v20, s2
; %bb.134:
	s_or_b32 exec_lo, exec_lo, s3
	v_and_b32_e32 v13, 0xffff0000, v13
	s_delay_alu instid0(VALU_DEP_1) | instskip(NEXT) | instid1(VALU_DEP_1)
	v_mul_f32_e32 v20, v40, v13
	v_and_b32_e32 v13, 0x7f800000, v20
	s_delay_alu instid0(VALU_DEP_1) | instskip(NEXT) | instid1(VALU_DEP_1)
	v_cmp_ne_u32_e64 s2, 0x7f800000, v13
                                        ; implicit-def: $vgpr13
	s_and_saveexec_b32 s3, s2
	s_delay_alu instid0(SALU_CYCLE_1)
	s_xor_b32 s2, exec_lo, s3
; %bb.135:
	v_bfe_u32 v13, v20, 16, 1
	s_delay_alu instid0(VALU_DEP_1)
	v_add3_u32 v13, v20, v13, 0x7fff
                                        ; implicit-def: $vgpr20
; %bb.136:
	s_and_not1_saveexec_b32 s3, s2
; %bb.137:
	v_and_b32_e32 v13, 0xffff, v20
	v_or_b32_e32 v23, 0x10000, v20
	s_delay_alu instid0(VALU_DEP_2) | instskip(NEXT) | instid1(VALU_DEP_1)
	v_cmp_eq_u32_e64 s2, 0, v13
	v_cndmask_b32_e64 v13, v23, v20, s2
; %bb.138:
	s_or_b32 exec_lo, exec_lo, s3
	v_and_b32_e32 v20, 0xffff0000, v19
	v_lshlrev_b32_e32 v19, 16, v14
	s_delay_alu instid0(VALU_DEP_1) | instskip(NEXT) | instid1(VALU_DEP_1)
	v_fmac_f32_e32 v20, v19, v39
	v_and_b32_e32 v19, 0x7f800000, v20
	s_delay_alu instid0(VALU_DEP_1) | instskip(NEXT) | instid1(VALU_DEP_1)
	v_cmp_ne_u32_e64 s2, 0x7f800000, v19
                                        ; implicit-def: $vgpr19
	s_and_saveexec_b32 s3, s2
	s_delay_alu instid0(SALU_CYCLE_1)
	s_xor_b32 s2, exec_lo, s3
; %bb.139:
	v_bfe_u32 v19, v20, 16, 1
	s_delay_alu instid0(VALU_DEP_1)
	v_add3_u32 v19, v20, v19, 0x7fff
                                        ; implicit-def: $vgpr20
; %bb.140:
	s_and_not1_saveexec_b32 s3, s2
; %bb.141:
	v_and_b32_e32 v19, 0xffff, v20
	v_or_b32_e32 v23, 0x10000, v20
	s_delay_alu instid0(VALU_DEP_2) | instskip(NEXT) | instid1(VALU_DEP_1)
	v_cmp_eq_u32_e64 s2, 0, v19
	v_cndmask_b32_e64 v19, v23, v20, s2
; %bb.142:
	s_or_b32 exec_lo, exec_lo, s3
	v_and_b32_e32 v20, 0xffff0000, v13
	v_and_b32_e32 v13, 0xffff0000, v14
	s_delay_alu instid0(VALU_DEP_1) | instskip(NEXT) | instid1(VALU_DEP_1)
	v_fmac_f32_e32 v20, v13, v38
	v_and_b32_e32 v13, 0x7f800000, v20
	s_delay_alu instid0(VALU_DEP_1) | instskip(NEXT) | instid1(VALU_DEP_1)
	v_cmp_ne_u32_e64 s2, 0x7f800000, v13
                                        ; implicit-def: $vgpr13
	s_and_saveexec_b32 s3, s2
	s_delay_alu instid0(SALU_CYCLE_1)
	s_xor_b32 s2, exec_lo, s3
; %bb.143:
	v_bfe_u32 v13, v20, 16, 1
	s_delay_alu instid0(VALU_DEP_1)
	v_add3_u32 v13, v20, v13, 0x7fff
                                        ; implicit-def: $vgpr20
; %bb.144:
	s_and_not1_saveexec_b32 s3, s2
; %bb.145:
	v_and_b32_e32 v13, 0xffff, v20
	v_or_b32_e32 v14, 0x10000, v20
	s_delay_alu instid0(VALU_DEP_2) | instskip(NEXT) | instid1(VALU_DEP_1)
	v_cmp_eq_u32_e64 s2, 0, v13
	v_cndmask_b32_e64 v13, v14, v20, s2
; %bb.146:
	s_or_b32 exec_lo, exec_lo, s3
	v_and_b32_e32 v19, 0xffff0000, v19
	v_lshlrev_b32_e32 v14, 16, v15
	s_delay_alu instid0(VALU_DEP_1) | instskip(NEXT) | instid1(VALU_DEP_1)
	v_fmac_f32_e32 v19, v14, v37
	v_and_b32_e32 v14, 0x7f800000, v19
	s_delay_alu instid0(VALU_DEP_1) | instskip(NEXT) | instid1(VALU_DEP_1)
	v_cmp_ne_u32_e64 s2, 0x7f800000, v14
                                        ; implicit-def: $vgpr14
	s_and_saveexec_b32 s3, s2
	s_delay_alu instid0(SALU_CYCLE_1)
	s_xor_b32 s2, exec_lo, s3
; %bb.147:
	v_bfe_u32 v14, v19, 16, 1
	s_delay_alu instid0(VALU_DEP_1)
	v_add3_u32 v14, v19, v14, 0x7fff
                                        ; implicit-def: $vgpr19
; %bb.148:
	s_and_not1_saveexec_b32 s3, s2
; %bb.149:
	v_and_b32_e32 v14, 0xffff, v19
	v_or_b32_e32 v20, 0x10000, v19
	s_delay_alu instid0(VALU_DEP_2) | instskip(NEXT) | instid1(VALU_DEP_1)
	v_cmp_eq_u32_e64 s2, 0, v14
	v_cndmask_b32_e64 v14, v20, v19, s2
; %bb.150:
	s_or_b32 exec_lo, exec_lo, s3
	v_and_b32_e32 v13, 0xffff0000, v13
	v_and_b32_e32 v15, 0xffff0000, v15
	s_delay_alu instid0(VALU_DEP_1) | instskip(NEXT) | instid1(VALU_DEP_1)
	v_fmac_f32_e32 v13, v15, v36
	v_and_b32_e32 v15, 0x7f800000, v13
	s_delay_alu instid0(VALU_DEP_1) | instskip(NEXT) | instid1(VALU_DEP_1)
	v_cmp_ne_u32_e64 s2, 0x7f800000, v15
                                        ; implicit-def: $vgpr15
	s_and_saveexec_b32 s3, s2
	s_delay_alu instid0(SALU_CYCLE_1)
	s_xor_b32 s2, exec_lo, s3
; %bb.151:
	v_bfe_u32 v15, v13, 16, 1
	s_delay_alu instid0(VALU_DEP_1)
	v_add3_u32 v15, v13, v15, 0x7fff
                                        ; implicit-def: $vgpr13
; %bb.152:
	s_and_not1_saveexec_b32 s3, s2
; %bb.153:
	v_and_b32_e32 v15, 0xffff, v13
	v_or_b32_e32 v19, 0x10000, v13
	s_delay_alu instid0(VALU_DEP_2) | instskip(NEXT) | instid1(VALU_DEP_1)
	v_cmp_eq_u32_e64 s2, 0, v15
	v_cndmask_b32_e64 v15, v19, v13, s2
; %bb.154:
	s_or_b32 exec_lo, exec_lo, s3
	v_and_b32_e32 v14, 0xffff0000, v14
	v_lshlrev_b32_e32 v13, 16, v16
	s_delay_alu instid0(VALU_DEP_1) | instskip(NEXT) | instid1(VALU_DEP_1)
	v_fmac_f32_e32 v14, v13, v35
	v_and_b32_e32 v13, 0x7f800000, v14
	s_delay_alu instid0(VALU_DEP_1) | instskip(NEXT) | instid1(VALU_DEP_1)
	v_cmp_ne_u32_e64 s2, 0x7f800000, v13
                                        ; implicit-def: $vgpr13
	s_and_saveexec_b32 s3, s2
	s_delay_alu instid0(SALU_CYCLE_1)
	s_xor_b32 s2, exec_lo, s3
; %bb.155:
	v_bfe_u32 v13, v14, 16, 1
	s_delay_alu instid0(VALU_DEP_1)
	v_add3_u32 v13, v14, v13, 0x7fff
                                        ; implicit-def: $vgpr14
; %bb.156:
	s_and_not1_saveexec_b32 s3, s2
; %bb.157:
	v_and_b32_e32 v13, 0xffff, v14
	v_or_b32_e32 v19, 0x10000, v14
	s_delay_alu instid0(VALU_DEP_2) | instskip(NEXT) | instid1(VALU_DEP_1)
	v_cmp_eq_u32_e64 s2, 0, v13
	v_cndmask_b32_e64 v13, v19, v14, s2
; %bb.158:
	s_or_b32 exec_lo, exec_lo, s3
	v_and_b32_e32 v15, 0xffff0000, v15
	v_and_b32_e32 v14, 0xffff0000, v16
	s_delay_alu instid0(VALU_DEP_1) | instskip(NEXT) | instid1(VALU_DEP_1)
	v_fmac_f32_e32 v15, v14, v34
	v_and_b32_e32 v14, 0x7f800000, v15
	s_delay_alu instid0(VALU_DEP_1) | instskip(NEXT) | instid1(VALU_DEP_1)
	v_cmp_ne_u32_e64 s2, 0x7f800000, v14
                                        ; implicit-def: $vgpr14
	s_and_saveexec_b32 s3, s2
	s_delay_alu instid0(SALU_CYCLE_1)
	s_xor_b32 s2, exec_lo, s3
; %bb.159:
	v_bfe_u32 v14, v15, 16, 1
	s_delay_alu instid0(VALU_DEP_1)
	v_add3_u32 v14, v15, v14, 0x7fff
                                        ; implicit-def: $vgpr15
; %bb.160:
	s_and_not1_saveexec_b32 s3, s2
; %bb.161:
	v_and_b32_e32 v14, 0xffff, v15
	v_or_b32_e32 v16, 0x10000, v15
	s_delay_alu instid0(VALU_DEP_2) | instskip(NEXT) | instid1(VALU_DEP_1)
	v_cmp_eq_u32_e64 s2, 0, v14
	v_cndmask_b32_e64 v14, v16, v15, s2
; %bb.162:
	s_or_b32 exec_lo, exec_lo, s3
	s_waitcnt vmcnt(2)
	v_lshlrev_b32_e32 v15, 16, v9
	s_delay_alu instid0(VALU_DEP_1) | instskip(NEXT) | instid1(VALU_DEP_1)
	v_mul_f32_e32 v16, v41, v15
	v_and_b32_e32 v15, 0x7f800000, v16
	s_delay_alu instid0(VALU_DEP_1) | instskip(NEXT) | instid1(VALU_DEP_1)
	v_cmp_ne_u32_e64 s2, 0x7f800000, v15
                                        ; implicit-def: $vgpr15
	s_and_saveexec_b32 s3, s2
	s_delay_alu instid0(SALU_CYCLE_1)
	s_xor_b32 s2, exec_lo, s3
; %bb.163:
	v_bfe_u32 v15, v16, 16, 1
	s_delay_alu instid0(VALU_DEP_1)
	v_add3_u32 v15, v16, v15, 0x7fff
                                        ; implicit-def: $vgpr16
; %bb.164:
	s_and_not1_saveexec_b32 s3, s2
; %bb.165:
	v_and_b32_e32 v15, 0xffff, v16
	v_or_b32_e32 v19, 0x10000, v16
	s_delay_alu instid0(VALU_DEP_2) | instskip(NEXT) | instid1(VALU_DEP_1)
	v_cmp_eq_u32_e64 s2, 0, v15
	v_cndmask_b32_e64 v15, v19, v16, s2
; %bb.166:
	s_or_b32 exec_lo, exec_lo, s3
	v_and_b32_e32 v9, 0xffff0000, v9
	s_delay_alu instid0(VALU_DEP_1) | instskip(NEXT) | instid1(VALU_DEP_1)
	v_mul_f32_e32 v16, v40, v9
	v_and_b32_e32 v9, 0x7f800000, v16
	s_delay_alu instid0(VALU_DEP_1) | instskip(NEXT) | instid1(VALU_DEP_1)
	v_cmp_ne_u32_e64 s2, 0x7f800000, v9
                                        ; implicit-def: $vgpr9
	s_and_saveexec_b32 s3, s2
	s_delay_alu instid0(SALU_CYCLE_1)
	s_xor_b32 s2, exec_lo, s3
; %bb.167:
	v_bfe_u32 v9, v16, 16, 1
	s_delay_alu instid0(VALU_DEP_1)
	v_add3_u32 v9, v16, v9, 0x7fff
                                        ; implicit-def: $vgpr16
; %bb.168:
	s_and_not1_saveexec_b32 s3, s2
; %bb.169:
	v_and_b32_e32 v9, 0xffff, v16
	v_or_b32_e32 v19, 0x10000, v16
	s_delay_alu instid0(VALU_DEP_2) | instskip(NEXT) | instid1(VALU_DEP_1)
	v_cmp_eq_u32_e64 s2, 0, v9
	v_cndmask_b32_e64 v9, v19, v16, s2
; %bb.170:
	s_or_b32 exec_lo, exec_lo, s3
	v_and_b32_e32 v16, 0xffff0000, v15
	v_lshlrev_b32_e32 v15, 16, v10
	s_delay_alu instid0(VALU_DEP_1) | instskip(NEXT) | instid1(VALU_DEP_1)
	v_fmac_f32_e32 v16, v15, v39
	v_and_b32_e32 v15, 0x7f800000, v16
	s_delay_alu instid0(VALU_DEP_1) | instskip(NEXT) | instid1(VALU_DEP_1)
	v_cmp_ne_u32_e64 s2, 0x7f800000, v15
                                        ; implicit-def: $vgpr15
	s_and_saveexec_b32 s3, s2
	s_delay_alu instid0(SALU_CYCLE_1)
	s_xor_b32 s2, exec_lo, s3
; %bb.171:
	v_bfe_u32 v15, v16, 16, 1
	s_delay_alu instid0(VALU_DEP_1)
	v_add3_u32 v15, v16, v15, 0x7fff
                                        ; implicit-def: $vgpr16
; %bb.172:
	s_and_not1_saveexec_b32 s3, s2
; %bb.173:
	v_and_b32_e32 v15, 0xffff, v16
	v_or_b32_e32 v19, 0x10000, v16
	s_delay_alu instid0(VALU_DEP_2) | instskip(NEXT) | instid1(VALU_DEP_1)
	v_cmp_eq_u32_e64 s2, 0, v15
	v_cndmask_b32_e64 v15, v19, v16, s2
; %bb.174:
	s_or_b32 exec_lo, exec_lo, s3
	v_and_b32_e32 v16, 0xffff0000, v9
	v_and_b32_e32 v9, 0xffff0000, v10
	s_delay_alu instid0(VALU_DEP_1) | instskip(NEXT) | instid1(VALU_DEP_1)
	v_fmac_f32_e32 v16, v9, v38
	v_and_b32_e32 v9, 0x7f800000, v16
	s_delay_alu instid0(VALU_DEP_1) | instskip(NEXT) | instid1(VALU_DEP_1)
	v_cmp_ne_u32_e64 s2, 0x7f800000, v9
                                        ; implicit-def: $vgpr9
	s_and_saveexec_b32 s3, s2
	s_delay_alu instid0(SALU_CYCLE_1)
	s_xor_b32 s2, exec_lo, s3
; %bb.175:
	v_bfe_u32 v9, v16, 16, 1
	s_delay_alu instid0(VALU_DEP_1)
	v_add3_u32 v9, v16, v9, 0x7fff
                                        ; implicit-def: $vgpr16
; %bb.176:
	s_and_not1_saveexec_b32 s3, s2
; %bb.177:
	v_and_b32_e32 v9, 0xffff, v16
	v_or_b32_e32 v10, 0x10000, v16
	s_delay_alu instid0(VALU_DEP_2) | instskip(NEXT) | instid1(VALU_DEP_1)
	v_cmp_eq_u32_e64 s2, 0, v9
	v_cndmask_b32_e64 v9, v10, v16, s2
; %bb.178:
	s_or_b32 exec_lo, exec_lo, s3
	v_and_b32_e32 v15, 0xffff0000, v15
	v_lshlrev_b32_e32 v10, 16, v11
	s_delay_alu instid0(VALU_DEP_1) | instskip(NEXT) | instid1(VALU_DEP_1)
	v_fmac_f32_e32 v15, v10, v37
	v_and_b32_e32 v10, 0x7f800000, v15
	s_delay_alu instid0(VALU_DEP_1) | instskip(NEXT) | instid1(VALU_DEP_1)
	v_cmp_ne_u32_e64 s2, 0x7f800000, v10
                                        ; implicit-def: $vgpr10
	s_and_saveexec_b32 s3, s2
	s_delay_alu instid0(SALU_CYCLE_1)
	s_xor_b32 s2, exec_lo, s3
; %bb.179:
	v_bfe_u32 v10, v15, 16, 1
	s_delay_alu instid0(VALU_DEP_1)
	v_add3_u32 v10, v15, v10, 0x7fff
                                        ; implicit-def: $vgpr15
; %bb.180:
	s_and_not1_saveexec_b32 s3, s2
; %bb.181:
	v_and_b32_e32 v10, 0xffff, v15
	v_or_b32_e32 v16, 0x10000, v15
	s_delay_alu instid0(VALU_DEP_2) | instskip(NEXT) | instid1(VALU_DEP_1)
	v_cmp_eq_u32_e64 s2, 0, v10
	v_cndmask_b32_e64 v10, v16, v15, s2
; %bb.182:
	s_or_b32 exec_lo, exec_lo, s3
	v_and_b32_e32 v9, 0xffff0000, v9
	v_and_b32_e32 v11, 0xffff0000, v11
	s_delay_alu instid0(VALU_DEP_1) | instskip(NEXT) | instid1(VALU_DEP_1)
	v_fmac_f32_e32 v9, v11, v36
	v_and_b32_e32 v11, 0x7f800000, v9
	s_delay_alu instid0(VALU_DEP_1) | instskip(NEXT) | instid1(VALU_DEP_1)
	v_cmp_ne_u32_e64 s2, 0x7f800000, v11
                                        ; implicit-def: $vgpr11
	s_and_saveexec_b32 s3, s2
	s_delay_alu instid0(SALU_CYCLE_1)
	s_xor_b32 s2, exec_lo, s3
; %bb.183:
	v_bfe_u32 v11, v9, 16, 1
	s_delay_alu instid0(VALU_DEP_1)
	v_add3_u32 v11, v9, v11, 0x7fff
                                        ; implicit-def: $vgpr9
; %bb.184:
	s_and_not1_saveexec_b32 s3, s2
; %bb.185:
	v_and_b32_e32 v11, 0xffff, v9
	v_or_b32_e32 v15, 0x10000, v9
	s_delay_alu instid0(VALU_DEP_2) | instskip(NEXT) | instid1(VALU_DEP_1)
	v_cmp_eq_u32_e64 s2, 0, v11
	v_cndmask_b32_e64 v11, v15, v9, s2
; %bb.186:
	s_or_b32 exec_lo, exec_lo, s3
	v_and_b32_e32 v10, 0xffff0000, v10
	v_lshlrev_b32_e32 v9, 16, v12
	s_delay_alu instid0(VALU_DEP_1) | instskip(NEXT) | instid1(VALU_DEP_1)
	v_fmac_f32_e32 v10, v9, v35
	v_and_b32_e32 v9, 0x7f800000, v10
	s_delay_alu instid0(VALU_DEP_1) | instskip(NEXT) | instid1(VALU_DEP_1)
	v_cmp_ne_u32_e64 s2, 0x7f800000, v9
                                        ; implicit-def: $vgpr9
	s_and_saveexec_b32 s3, s2
	s_delay_alu instid0(SALU_CYCLE_1)
	s_xor_b32 s2, exec_lo, s3
; %bb.187:
	v_bfe_u32 v9, v10, 16, 1
	s_delay_alu instid0(VALU_DEP_1)
	v_add3_u32 v9, v10, v9, 0x7fff
                                        ; implicit-def: $vgpr10
; %bb.188:
	s_and_not1_saveexec_b32 s3, s2
; %bb.189:
	v_and_b32_e32 v9, 0xffff, v10
	v_or_b32_e32 v15, 0x10000, v10
	s_delay_alu instid0(VALU_DEP_2) | instskip(NEXT) | instid1(VALU_DEP_1)
	v_cmp_eq_u32_e64 s2, 0, v9
	v_cndmask_b32_e64 v9, v15, v10, s2
; %bb.190:
	s_or_b32 exec_lo, exec_lo, s3
	v_and_b32_e32 v11, 0xffff0000, v11
	v_and_b32_e32 v10, 0xffff0000, v12
	s_delay_alu instid0(VALU_DEP_1) | instskip(NEXT) | instid1(VALU_DEP_1)
	v_fmac_f32_e32 v11, v10, v34
	v_and_b32_e32 v10, 0x7f800000, v11
	s_delay_alu instid0(VALU_DEP_1) | instskip(NEXT) | instid1(VALU_DEP_1)
	v_cmp_ne_u32_e64 s2, 0x7f800000, v10
                                        ; implicit-def: $vgpr10
	s_and_saveexec_b32 s3, s2
	s_delay_alu instid0(SALU_CYCLE_1)
	s_xor_b32 s2, exec_lo, s3
; %bb.191:
	v_bfe_u32 v10, v11, 16, 1
	s_delay_alu instid0(VALU_DEP_1)
	v_add3_u32 v10, v11, v10, 0x7fff
                                        ; implicit-def: $vgpr11
; %bb.192:
	s_and_not1_saveexec_b32 s3, s2
; %bb.193:
	v_and_b32_e32 v10, 0xffff, v11
	v_or_b32_e32 v12, 0x10000, v11
	s_delay_alu instid0(VALU_DEP_2) | instskip(NEXT) | instid1(VALU_DEP_1)
	v_cmp_eq_u32_e64 s2, 0, v10
	v_cndmask_b32_e64 v10, v12, v11, s2
; %bb.194:
	s_or_b32 exec_lo, exec_lo, s3
	s_waitcnt vmcnt(1)
	v_lshlrev_b32_e32 v11, 16, v5
	s_delay_alu instid0(VALU_DEP_1) | instskip(NEXT) | instid1(VALU_DEP_1)
	v_mul_f32_e32 v12, v41, v11
	v_and_b32_e32 v11, 0x7f800000, v12
	s_delay_alu instid0(VALU_DEP_1) | instskip(NEXT) | instid1(VALU_DEP_1)
	v_cmp_ne_u32_e64 s2, 0x7f800000, v11
                                        ; implicit-def: $vgpr11
	s_and_saveexec_b32 s3, s2
	s_delay_alu instid0(SALU_CYCLE_1)
	s_xor_b32 s2, exec_lo, s3
; %bb.195:
	v_bfe_u32 v11, v12, 16, 1
	s_delay_alu instid0(VALU_DEP_1)
	v_add3_u32 v11, v12, v11, 0x7fff
                                        ; implicit-def: $vgpr12
; %bb.196:
	s_and_not1_saveexec_b32 s3, s2
; %bb.197:
	v_and_b32_e32 v11, 0xffff, v12
	v_or_b32_e32 v15, 0x10000, v12
	s_delay_alu instid0(VALU_DEP_2) | instskip(NEXT) | instid1(VALU_DEP_1)
	v_cmp_eq_u32_e64 s2, 0, v11
	v_cndmask_b32_e64 v11, v15, v12, s2
; %bb.198:
	s_or_b32 exec_lo, exec_lo, s3
	v_and_b32_e32 v5, 0xffff0000, v5
	s_delay_alu instid0(VALU_DEP_1) | instskip(NEXT) | instid1(VALU_DEP_1)
	v_mul_f32_e32 v12, v40, v5
	v_and_b32_e32 v5, 0x7f800000, v12
	s_delay_alu instid0(VALU_DEP_1) | instskip(NEXT) | instid1(VALU_DEP_1)
	v_cmp_ne_u32_e64 s2, 0x7f800000, v5
                                        ; implicit-def: $vgpr5
	s_and_saveexec_b32 s3, s2
	s_delay_alu instid0(SALU_CYCLE_1)
	s_xor_b32 s2, exec_lo, s3
; %bb.199:
	v_bfe_u32 v5, v12, 16, 1
	s_delay_alu instid0(VALU_DEP_1)
	v_add3_u32 v5, v12, v5, 0x7fff
                                        ; implicit-def: $vgpr12
; %bb.200:
	s_and_not1_saveexec_b32 s3, s2
; %bb.201:
	v_and_b32_e32 v5, 0xffff, v12
	v_or_b32_e32 v15, 0x10000, v12
	s_delay_alu instid0(VALU_DEP_2) | instskip(NEXT) | instid1(VALU_DEP_1)
	v_cmp_eq_u32_e64 s2, 0, v5
	v_cndmask_b32_e64 v5, v15, v12, s2
; %bb.202:
	s_or_b32 exec_lo, exec_lo, s3
	v_and_b32_e32 v12, 0xffff0000, v11
	v_lshlrev_b32_e32 v11, 16, v6
	s_delay_alu instid0(VALU_DEP_1) | instskip(NEXT) | instid1(VALU_DEP_1)
	v_fmac_f32_e32 v12, v11, v39
	v_and_b32_e32 v11, 0x7f800000, v12
	s_delay_alu instid0(VALU_DEP_1) | instskip(NEXT) | instid1(VALU_DEP_1)
	v_cmp_ne_u32_e64 s2, 0x7f800000, v11
                                        ; implicit-def: $vgpr11
	s_and_saveexec_b32 s3, s2
	s_delay_alu instid0(SALU_CYCLE_1)
	s_xor_b32 s2, exec_lo, s3
; %bb.203:
	v_bfe_u32 v11, v12, 16, 1
	s_delay_alu instid0(VALU_DEP_1)
	v_add3_u32 v11, v12, v11, 0x7fff
                                        ; implicit-def: $vgpr12
; %bb.204:
	s_and_not1_saveexec_b32 s3, s2
; %bb.205:
	v_and_b32_e32 v11, 0xffff, v12
	v_or_b32_e32 v15, 0x10000, v12
	s_delay_alu instid0(VALU_DEP_2) | instskip(NEXT) | instid1(VALU_DEP_1)
	v_cmp_eq_u32_e64 s2, 0, v11
	v_cndmask_b32_e64 v11, v15, v12, s2
; %bb.206:
	s_or_b32 exec_lo, exec_lo, s3
	v_and_b32_e32 v12, 0xffff0000, v5
	v_and_b32_e32 v5, 0xffff0000, v6
	s_delay_alu instid0(VALU_DEP_1) | instskip(NEXT) | instid1(VALU_DEP_1)
	v_fmac_f32_e32 v12, v5, v38
	v_and_b32_e32 v5, 0x7f800000, v12
	s_delay_alu instid0(VALU_DEP_1) | instskip(NEXT) | instid1(VALU_DEP_1)
	v_cmp_ne_u32_e64 s2, 0x7f800000, v5
                                        ; implicit-def: $vgpr5
	s_and_saveexec_b32 s3, s2
	s_delay_alu instid0(SALU_CYCLE_1)
	s_xor_b32 s2, exec_lo, s3
; %bb.207:
	v_bfe_u32 v5, v12, 16, 1
	s_delay_alu instid0(VALU_DEP_1)
	v_add3_u32 v5, v12, v5, 0x7fff
                                        ; implicit-def: $vgpr12
; %bb.208:
	s_and_not1_saveexec_b32 s3, s2
; %bb.209:
	v_and_b32_e32 v5, 0xffff, v12
	v_or_b32_e32 v6, 0x10000, v12
	s_delay_alu instid0(VALU_DEP_2) | instskip(NEXT) | instid1(VALU_DEP_1)
	v_cmp_eq_u32_e64 s2, 0, v5
	v_cndmask_b32_e64 v5, v6, v12, s2
; %bb.210:
	s_or_b32 exec_lo, exec_lo, s3
	v_and_b32_e32 v11, 0xffff0000, v11
	v_lshlrev_b32_e32 v6, 16, v7
	s_delay_alu instid0(VALU_DEP_1) | instskip(NEXT) | instid1(VALU_DEP_1)
	v_fmac_f32_e32 v11, v6, v37
	v_and_b32_e32 v6, 0x7f800000, v11
	s_delay_alu instid0(VALU_DEP_1) | instskip(NEXT) | instid1(VALU_DEP_1)
	v_cmp_ne_u32_e64 s2, 0x7f800000, v6
                                        ; implicit-def: $vgpr6
	s_and_saveexec_b32 s3, s2
	s_delay_alu instid0(SALU_CYCLE_1)
	s_xor_b32 s2, exec_lo, s3
; %bb.211:
	v_bfe_u32 v6, v11, 16, 1
	s_delay_alu instid0(VALU_DEP_1)
	v_add3_u32 v6, v11, v6, 0x7fff
                                        ; implicit-def: $vgpr11
; %bb.212:
	s_and_not1_saveexec_b32 s3, s2
; %bb.213:
	v_and_b32_e32 v6, 0xffff, v11
	v_or_b32_e32 v12, 0x10000, v11
	s_delay_alu instid0(VALU_DEP_2) | instskip(NEXT) | instid1(VALU_DEP_1)
	v_cmp_eq_u32_e64 s2, 0, v6
	v_cndmask_b32_e64 v6, v12, v11, s2
; %bb.214:
	s_or_b32 exec_lo, exec_lo, s3
	v_and_b32_e32 v5, 0xffff0000, v5
	v_and_b32_e32 v7, 0xffff0000, v7
	s_delay_alu instid0(VALU_DEP_1) | instskip(NEXT) | instid1(VALU_DEP_1)
	v_fmac_f32_e32 v5, v7, v36
	v_and_b32_e32 v7, 0x7f800000, v5
	s_delay_alu instid0(VALU_DEP_1) | instskip(NEXT) | instid1(VALU_DEP_1)
	v_cmp_ne_u32_e64 s2, 0x7f800000, v7
                                        ; implicit-def: $vgpr7
	s_and_saveexec_b32 s3, s2
	s_delay_alu instid0(SALU_CYCLE_1)
	s_xor_b32 s2, exec_lo, s3
; %bb.215:
	v_bfe_u32 v7, v5, 16, 1
	s_delay_alu instid0(VALU_DEP_1)
	v_add3_u32 v7, v5, v7, 0x7fff
                                        ; implicit-def: $vgpr5
; %bb.216:
	s_and_not1_saveexec_b32 s3, s2
; %bb.217:
	v_and_b32_e32 v7, 0xffff, v5
	v_or_b32_e32 v11, 0x10000, v5
	s_delay_alu instid0(VALU_DEP_2) | instskip(NEXT) | instid1(VALU_DEP_1)
	v_cmp_eq_u32_e64 s2, 0, v7
	v_cndmask_b32_e64 v7, v11, v5, s2
; %bb.218:
	s_or_b32 exec_lo, exec_lo, s3
	v_and_b32_e32 v6, 0xffff0000, v6
	v_lshlrev_b32_e32 v5, 16, v8
	s_delay_alu instid0(VALU_DEP_1) | instskip(NEXT) | instid1(VALU_DEP_1)
	v_fmac_f32_e32 v6, v5, v35
	v_and_b32_e32 v5, 0x7f800000, v6
	s_delay_alu instid0(VALU_DEP_1) | instskip(NEXT) | instid1(VALU_DEP_1)
	v_cmp_ne_u32_e64 s2, 0x7f800000, v5
                                        ; implicit-def: $vgpr5
	s_and_saveexec_b32 s3, s2
	s_delay_alu instid0(SALU_CYCLE_1)
	s_xor_b32 s2, exec_lo, s3
; %bb.219:
	v_bfe_u32 v5, v6, 16, 1
	s_delay_alu instid0(VALU_DEP_1)
	v_add3_u32 v5, v6, v5, 0x7fff
                                        ; implicit-def: $vgpr6
; %bb.220:
	s_and_not1_saveexec_b32 s3, s2
; %bb.221:
	v_and_b32_e32 v5, 0xffff, v6
	v_or_b32_e32 v11, 0x10000, v6
	s_delay_alu instid0(VALU_DEP_2) | instskip(NEXT) | instid1(VALU_DEP_1)
	v_cmp_eq_u32_e64 s2, 0, v5
	v_cndmask_b32_e64 v5, v11, v6, s2
; %bb.222:
	s_or_b32 exec_lo, exec_lo, s3
	v_and_b32_e32 v7, 0xffff0000, v7
	v_and_b32_e32 v6, 0xffff0000, v8
	s_delay_alu instid0(VALU_DEP_1) | instskip(NEXT) | instid1(VALU_DEP_1)
	v_fmac_f32_e32 v7, v6, v34
	v_and_b32_e32 v6, 0x7f800000, v7
	s_delay_alu instid0(VALU_DEP_1) | instskip(NEXT) | instid1(VALU_DEP_1)
	v_cmp_ne_u32_e64 s2, 0x7f800000, v6
                                        ; implicit-def: $vgpr6
	s_and_saveexec_b32 s3, s2
	s_delay_alu instid0(SALU_CYCLE_1)
	s_xor_b32 s2, exec_lo, s3
; %bb.223:
	v_bfe_u32 v6, v7, 16, 1
	s_delay_alu instid0(VALU_DEP_1)
	v_add3_u32 v6, v7, v6, 0x7fff
                                        ; implicit-def: $vgpr7
; %bb.224:
	s_and_not1_saveexec_b32 s3, s2
; %bb.225:
	v_and_b32_e32 v6, 0xffff, v7
	v_or_b32_e32 v8, 0x10000, v7
	s_delay_alu instid0(VALU_DEP_2) | instskip(NEXT) | instid1(VALU_DEP_1)
	v_cmp_eq_u32_e64 s2, 0, v6
	v_cndmask_b32_e64 v6, v8, v7, s2
; %bb.226:
	s_or_b32 exec_lo, exec_lo, s3
	s_waitcnt vmcnt(0)
	v_lshlrev_b32_e32 v7, 16, v1
	s_delay_alu instid0(VALU_DEP_1) | instskip(NEXT) | instid1(VALU_DEP_1)
	v_mul_f32_e32 v8, v41, v7
	v_and_b32_e32 v7, 0x7f800000, v8
	s_delay_alu instid0(VALU_DEP_1) | instskip(NEXT) | instid1(VALU_DEP_1)
	v_cmp_ne_u32_e64 s2, 0x7f800000, v7
                                        ; implicit-def: $vgpr7
	s_and_saveexec_b32 s3, s2
	s_delay_alu instid0(SALU_CYCLE_1)
	s_xor_b32 s2, exec_lo, s3
; %bb.227:
	v_bfe_u32 v7, v8, 16, 1
	s_delay_alu instid0(VALU_DEP_1)
	v_add3_u32 v7, v8, v7, 0x7fff
                                        ; implicit-def: $vgpr8
; %bb.228:
	s_and_not1_saveexec_b32 s3, s2
; %bb.229:
	v_and_b32_e32 v7, 0xffff, v8
	v_or_b32_e32 v11, 0x10000, v8
	s_delay_alu instid0(VALU_DEP_2) | instskip(NEXT) | instid1(VALU_DEP_1)
	v_cmp_eq_u32_e64 s2, 0, v7
	v_cndmask_b32_e64 v7, v11, v8, s2
; %bb.230:
	s_or_b32 exec_lo, exec_lo, s3
	v_and_b32_e32 v1, 0xffff0000, v1
	s_delay_alu instid0(VALU_DEP_1) | instskip(NEXT) | instid1(VALU_DEP_1)
	v_mul_f32_e32 v8, v40, v1
	v_and_b32_e32 v1, 0x7f800000, v8
	s_delay_alu instid0(VALU_DEP_1) | instskip(NEXT) | instid1(VALU_DEP_1)
	v_cmp_ne_u32_e64 s2, 0x7f800000, v1
                                        ; implicit-def: $vgpr1
	s_and_saveexec_b32 s3, s2
	s_delay_alu instid0(SALU_CYCLE_1)
	s_xor_b32 s2, exec_lo, s3
; %bb.231:
	v_bfe_u32 v1, v8, 16, 1
	s_delay_alu instid0(VALU_DEP_1)
	v_add3_u32 v1, v8, v1, 0x7fff
                                        ; implicit-def: $vgpr8
; %bb.232:
	s_and_not1_saveexec_b32 s3, s2
; %bb.233:
	v_and_b32_e32 v1, 0xffff, v8
	v_or_b32_e32 v11, 0x10000, v8
	s_delay_alu instid0(VALU_DEP_2) | instskip(NEXT) | instid1(VALU_DEP_1)
	v_cmp_eq_u32_e64 s2, 0, v1
	v_cndmask_b32_e64 v1, v11, v8, s2
; %bb.234:
	s_or_b32 exec_lo, exec_lo, s3
	v_and_b32_e32 v8, 0xffff0000, v7
	v_lshlrev_b32_e32 v7, 16, v2
	s_delay_alu instid0(VALU_DEP_1) | instskip(NEXT) | instid1(VALU_DEP_1)
	v_fmac_f32_e32 v8, v7, v39
	v_and_b32_e32 v7, 0x7f800000, v8
	s_delay_alu instid0(VALU_DEP_1) | instskip(NEXT) | instid1(VALU_DEP_1)
	v_cmp_ne_u32_e64 s2, 0x7f800000, v7
                                        ; implicit-def: $vgpr7
	s_and_saveexec_b32 s3, s2
	s_delay_alu instid0(SALU_CYCLE_1)
	s_xor_b32 s2, exec_lo, s3
; %bb.235:
	v_bfe_u32 v7, v8, 16, 1
	s_delay_alu instid0(VALU_DEP_1)
	v_add3_u32 v7, v8, v7, 0x7fff
                                        ; implicit-def: $vgpr8
; %bb.236:
	s_and_not1_saveexec_b32 s3, s2
; %bb.237:
	v_and_b32_e32 v7, 0xffff, v8
	v_or_b32_e32 v11, 0x10000, v8
	s_delay_alu instid0(VALU_DEP_2) | instskip(NEXT) | instid1(VALU_DEP_1)
	v_cmp_eq_u32_e64 s2, 0, v7
	v_cndmask_b32_e64 v7, v11, v8, s2
; %bb.238:
	s_or_b32 exec_lo, exec_lo, s3
	v_and_b32_e32 v8, 0xffff0000, v1
	v_and_b32_e32 v1, 0xffff0000, v2
	s_delay_alu instid0(VALU_DEP_1) | instskip(NEXT) | instid1(VALU_DEP_1)
	v_fmac_f32_e32 v8, v1, v38
	v_and_b32_e32 v1, 0x7f800000, v8
	s_delay_alu instid0(VALU_DEP_1) | instskip(NEXT) | instid1(VALU_DEP_1)
	v_cmp_ne_u32_e64 s2, 0x7f800000, v1
                                        ; implicit-def: $vgpr1
	s_and_saveexec_b32 s3, s2
	s_delay_alu instid0(SALU_CYCLE_1)
	s_xor_b32 s2, exec_lo, s3
; %bb.239:
	v_bfe_u32 v1, v8, 16, 1
	s_delay_alu instid0(VALU_DEP_1)
	v_add3_u32 v1, v8, v1, 0x7fff
                                        ; implicit-def: $vgpr8
; %bb.240:
	s_and_not1_saveexec_b32 s3, s2
; %bb.241:
	v_and_b32_e32 v1, 0xffff, v8
	v_or_b32_e32 v2, 0x10000, v8
	s_delay_alu instid0(VALU_DEP_2) | instskip(NEXT) | instid1(VALU_DEP_1)
	v_cmp_eq_u32_e64 s2, 0, v1
	v_cndmask_b32_e64 v1, v2, v8, s2
; %bb.242:
	s_or_b32 exec_lo, exec_lo, s3
	v_and_b32_e32 v7, 0xffff0000, v7
	v_lshlrev_b32_e32 v2, 16, v3
	s_delay_alu instid0(VALU_DEP_1) | instskip(NEXT) | instid1(VALU_DEP_1)
	v_fmac_f32_e32 v7, v2, v37
	v_and_b32_e32 v2, 0x7f800000, v7
	s_delay_alu instid0(VALU_DEP_1) | instskip(NEXT) | instid1(VALU_DEP_1)
	v_cmp_ne_u32_e64 s2, 0x7f800000, v2
                                        ; implicit-def: $vgpr2
	s_and_saveexec_b32 s3, s2
	s_delay_alu instid0(SALU_CYCLE_1)
	s_xor_b32 s2, exec_lo, s3
; %bb.243:
	v_bfe_u32 v2, v7, 16, 1
	s_delay_alu instid0(VALU_DEP_1)
	v_add3_u32 v2, v7, v2, 0x7fff
                                        ; implicit-def: $vgpr7
; %bb.244:
	s_and_not1_saveexec_b32 s3, s2
; %bb.245:
	v_and_b32_e32 v2, 0xffff, v7
	v_or_b32_e32 v8, 0x10000, v7
	s_delay_alu instid0(VALU_DEP_2) | instskip(NEXT) | instid1(VALU_DEP_1)
	v_cmp_eq_u32_e64 s2, 0, v2
	v_cndmask_b32_e64 v2, v8, v7, s2
; %bb.246:
	s_or_b32 exec_lo, exec_lo, s3
	v_and_b32_e32 v1, 0xffff0000, v1
	v_and_b32_e32 v3, 0xffff0000, v3
	s_delay_alu instid0(VALU_DEP_1) | instskip(NEXT) | instid1(VALU_DEP_1)
	v_fmac_f32_e32 v1, v3, v36
	v_and_b32_e32 v3, 0x7f800000, v1
	s_delay_alu instid0(VALU_DEP_1) | instskip(NEXT) | instid1(VALU_DEP_1)
	v_cmp_ne_u32_e64 s2, 0x7f800000, v3
                                        ; implicit-def: $vgpr3
	s_and_saveexec_b32 s3, s2
	s_delay_alu instid0(SALU_CYCLE_1)
	s_xor_b32 s2, exec_lo, s3
; %bb.247:
	v_bfe_u32 v3, v1, 16, 1
	s_delay_alu instid0(VALU_DEP_1)
	v_add3_u32 v3, v1, v3, 0x7fff
                                        ; implicit-def: $vgpr1
; %bb.248:
	s_and_not1_saveexec_b32 s3, s2
; %bb.249:
	v_and_b32_e32 v3, 0xffff, v1
	v_or_b32_e32 v7, 0x10000, v1
	s_delay_alu instid0(VALU_DEP_2) | instskip(NEXT) | instid1(VALU_DEP_1)
	v_cmp_eq_u32_e64 s2, 0, v3
	v_cndmask_b32_e64 v3, v7, v1, s2
; %bb.250:
	s_or_b32 exec_lo, exec_lo, s3
	v_and_b32_e32 v2, 0xffff0000, v2
	v_lshlrev_b32_e32 v1, 16, v4
	s_delay_alu instid0(VALU_DEP_1) | instskip(NEXT) | instid1(VALU_DEP_1)
	v_fmac_f32_e32 v2, v1, v35
	v_and_b32_e32 v1, 0x7f800000, v2
	s_delay_alu instid0(VALU_DEP_1) | instskip(NEXT) | instid1(VALU_DEP_1)
	v_cmp_ne_u32_e64 s2, 0x7f800000, v1
                                        ; implicit-def: $vgpr1
	s_and_saveexec_b32 s3, s2
	s_delay_alu instid0(SALU_CYCLE_1)
	s_xor_b32 s2, exec_lo, s3
; %bb.251:
	v_bfe_u32 v1, v2, 16, 1
	s_delay_alu instid0(VALU_DEP_1)
	v_add3_u32 v1, v2, v1, 0x7fff
                                        ; implicit-def: $vgpr2
; %bb.252:
	s_and_not1_saveexec_b32 s3, s2
; %bb.253:
	v_and_b32_e32 v1, 0xffff, v2
	v_or_b32_e32 v7, 0x10000, v2
	s_delay_alu instid0(VALU_DEP_2) | instskip(NEXT) | instid1(VALU_DEP_1)
	v_cmp_eq_u32_e64 s2, 0, v1
	v_cndmask_b32_e64 v1, v7, v2, s2
; %bb.254:
	s_or_b32 exec_lo, exec_lo, s3
	v_and_b32_e32 v3, 0xffff0000, v3
	v_and_b32_e32 v2, 0xffff0000, v4
	s_delay_alu instid0(VALU_DEP_1) | instskip(NEXT) | instid1(VALU_DEP_1)
	v_fmac_f32_e32 v3, v2, v34
	v_and_b32_e32 v2, 0x7f800000, v3
	s_delay_alu instid0(VALU_DEP_1) | instskip(NEXT) | instid1(VALU_DEP_1)
	v_cmp_ne_u32_e64 s2, 0x7f800000, v2
                                        ; implicit-def: $vgpr2
	s_and_saveexec_b32 s3, s2
	s_delay_alu instid0(SALU_CYCLE_1)
	s_xor_b32 s2, exec_lo, s3
; %bb.255:
	v_bfe_u32 v2, v3, 16, 1
	s_delay_alu instid0(VALU_DEP_1)
	v_add3_u32 v2, v3, v2, 0x7fff
                                        ; implicit-def: $vgpr3
; %bb.256:
	s_and_not1_saveexec_b32 s3, s2
; %bb.257:
	v_and_b32_e32 v2, 0xffff, v3
	v_or_b32_e32 v4, 0x10000, v3
	s_delay_alu instid0(VALU_DEP_2) | instskip(NEXT) | instid1(VALU_DEP_1)
	v_cmp_eq_u32_e64 s2, 0, v2
	v_cndmask_b32_e64 v2, v4, v3, s2
; %bb.258:
	s_or_b32 exec_lo, exec_lo, s3
	v_and_b32_e32 v8, 0xffff0000, v14
	v_and_b32_e32 v12, 0xffff0000, v25
	;; [unrolled: 1-line block ×5, first 2 shown]
	s_delay_alu instid0(VALU_DEP_3) | instskip(SKIP_4) | instid1(VALU_DEP_2)
	v_dual_add_f32 v12, v12, v14 :: v_dual_and_b32 v1, 0xffff0000, v1
	v_and_b32_e32 v4, 0xffff0000, v6
	v_and_b32_e32 v6, 0xffff0000, v10
	;; [unrolled: 1-line block ×4, first 2 shown]
	v_dual_add_f32 v3, v3, v4 :: v_dual_and_b32 v10, 0xffff0000, v30
	s_delay_alu instid0(VALU_DEP_1) | instskip(SKIP_2) | instid1(VALU_DEP_3)
	v_dual_add_f32 v4, v5, v6 :: v_dual_cndmask_b32 v3, 0, v3
	v_add_f32_e32 v5, v7, v8
	v_mbcnt_lo_u32_b32 v8, -1, 0
	v_dual_cndmask_b32 v4, 0, v4 :: v_dual_and_b32 v7, 0xffff0000, v18
	s_delay_alu instid0(VALU_DEP_2)
	v_xor_b32_e32 v13, 16, v8
	v_xor_b32_e32 v19, 8, v8
	v_and_b32_e32 v2, 0xffff0000, v2
	v_and_b32_e32 v9, 0xffff0000, v29
	v_xor_b32_e32 v20, 4, v8
	v_cmp_gt_i32_e64 s2, 32, v13
	s_delay_alu instid0(VALU_DEP_4) | instskip(NEXT) | instid1(VALU_DEP_4)
	v_add_f32_e32 v2, v1, v2
	v_dual_add_f32 v9, v9, v10 :: v_dual_and_b32 v6, 0xffff0000, v17
	s_delay_alu instid0(VALU_DEP_3) | instskip(SKIP_1) | instid1(VALU_DEP_2)
	v_cndmask_b32_e64 v10, v8, v13, s2
	s_mov_b32 s2, exec_lo
	v_cndmask_b32_e32 v9, 0, v9, vcc_lo
	s_delay_alu instid0(VALU_DEP_2)
	v_dual_cndmask_b32 v10, 0, v12 :: v_dual_lshlrev_b32 v1, 2, v10
	v_dual_cndmask_b32 v5, 0, v5 :: v_dual_add_f32 v6, v6, v7
	v_and_b32_e32 v7, 0xffff0000, v21
	ds_bpermute_b32 v16, v1, v4
	ds_bpermute_b32 v12, v1, v10
	v_xor_b32_e32 v21, 2, v8
	v_cndmask_b32_e32 v6, 0, v6, vcc_lo
	s_waitcnt lgkmcnt(0)
	v_dual_add_f32 v10, v10, v12 :: v_dual_add_f32 v7, v7, v11
	v_dual_cndmask_b32 v11, 0, v2 :: v_dual_add_f32 v12, v4, v16
	ds_bpermute_b32 v2, v1, v9
	ds_bpermute_b32 v14, v1, v6
	v_cndmask_b32_e32 v7, 0, v7, vcc_lo
	ds_bpermute_b32 v15, v1, v5
	v_cmp_gt_i32_e32 vcc_lo, 32, v19
	ds_bpermute_b32 v17, v1, v3
	ds_bpermute_b32 v13, v1, v7
	v_cndmask_b32_e32 v19, v8, v19, vcc_lo
	v_cmp_gt_i32_e32 vcc_lo, 32, v20
	v_cndmask_b32_e32 v20, v8, v20, vcc_lo
	v_cmp_gt_i32_e32 vcc_lo, 32, v21
	s_waitcnt lgkmcnt(4)
	v_add_f32_e32 v9, v9, v2
	s_waitcnt lgkmcnt(3)
	v_add_f32_e32 v6, v6, v14
	v_lshlrev_b32_e32 v2, 2, v19
	s_waitcnt lgkmcnt(2)
	v_add_f32_e32 v5, v5, v15
	ds_bpermute_b32 v18, v1, v11
	s_waitcnt lgkmcnt(2)
	v_add_f32_e32 v3, v3, v17
	v_cndmask_b32_e32 v21, v8, v21, vcc_lo
	ds_bpermute_b32 v15, v2, v6
	s_waitcnt lgkmcnt(2)
	v_add_f32_e32 v7, v7, v13
	ds_bpermute_b32 v13, v2, v10
	ds_bpermute_b32 v4, v2, v9
	;; [unrolled: 1-line block ×3, first 2 shown]
	s_waitcnt lgkmcnt(3)
	v_dual_add_f32 v11, v11, v18 :: v_dual_add_f32 v6, v6, v15
	ds_bpermute_b32 v14, v2, v7
	s_waitcnt lgkmcnt(3)
	v_add_f32_e32 v10, v10, v13
	ds_bpermute_b32 v16, v2, v5
	s_waitcnt lgkmcnt(2)
	v_dual_add_f32 v12, v12, v17 :: v_dual_add_f32 v9, v9, v4
	v_lshlrev_b32_e32 v4, 2, v20
	ds_bpermute_b32 v19, v2, v11
	ds_bpermute_b32 v18, v2, v3
	s_waitcnt lgkmcnt(2)
	v_add_f32_e32 v13, v5, v16
	ds_bpermute_b32 v16, v4, v6
	v_add_f32_e32 v7, v7, v14
	ds_bpermute_b32 v14, v4, v10
	s_waitcnt lgkmcnt(0)
	v_add_f32_e32 v10, v10, v14
	v_add_f32_e32 v14, v6, v16
	v_xor_b32_e32 v6, 1, v8
	ds_bpermute_b32 v5, v4, v9
	v_add_f32_e32 v3, v3, v18
	ds_bpermute_b32 v15, v4, v7
	ds_bpermute_b32 v18, v4, v12
	v_cmp_gt_i32_e32 vcc_lo, 32, v6
	v_dual_cndmask_b32 v6, v8, v6 :: v_dual_add_f32 v11, v11, v19
	ds_bpermute_b32 v17, v4, v13
	v_lshlrev_b32_e32 v6, 2, v6
	ds_bpermute_b32 v20, v4, v11
	s_waitcnt lgkmcnt(4)
	v_add_f32_e32 v9, v9, v5
	s_waitcnt lgkmcnt(0)
	v_dual_add_f32 v13, v13, v17 :: v_dual_add_f32 v16, v11, v20
	v_lshlrev_b32_e32 v5, 2, v21
	ds_bpermute_b32 v24, v5, v16
	v_add_f32_e32 v7, v7, v15
	v_add_f32_e32 v15, v12, v18
	ds_bpermute_b32 v12, v5, v10
	ds_bpermute_b32 v22, v5, v15
	s_waitcnt lgkmcnt(2)
	v_add_f32_e32 v8, v16, v24
	s_waitcnt lgkmcnt(1)
	v_add_f32_e32 v18, v10, v12
	ds_bpermute_b32 v19, v4, v3
	s_waitcnt lgkmcnt(1)
	v_add_f32_e32 v10, v15, v22
	ds_bpermute_b32 v20, v5, v14
	ds_bpermute_b32 v21, v5, v13
	;; [unrolled: 1-line block ×4, first 2 shown]
	s_waitcnt lgkmcnt(4)
	v_add_f32_e32 v3, v3, v19
	ds_bpermute_b32 v19, v5, v7
	s_waitcnt lgkmcnt(4)
	v_add_f32_e32 v12, v14, v20
	ds_bpermute_b32 v11, v5, v9
	ds_bpermute_b32 v23, v5, v3
	;; [unrolled: 1-line block ×3, first 2 shown]
	s_waitcnt lgkmcnt(3)
	v_add_f32_e32 v19, v7, v19
	v_and_b32_e32 v7, 31, v0
	s_waitcnt lgkmcnt(2)
	v_add_f32_e32 v17, v9, v11
	v_add_f32_e32 v11, v13, v21
	s_waitcnt lgkmcnt(1)
	v_add_f32_e32 v9, v3, v23
	ds_bpermute_b32 v23, v6, v19
	ds_bpermute_b32 v13, v6, v8
	;; [unrolled: 1-line block ×5, first 2 shown]
	v_lshrrev_b32_e32 v3, 5, v0
	v_cmpx_gt_u32_e32 8, v7
	s_cbranch_execz .LBB6_260
; %bb.259:
	s_waitcnt lgkmcnt(2)
	v_dual_add_f32 v17, v17, v21 :: v_dual_add_f32 v18, v18, v22
	v_cmp_eq_u32_e32 vcc_lo, 1, v7
	v_dual_add_f32 v19, v19, v23 :: v_dual_add_f32 v12, v12, v20
	s_waitcnt lgkmcnt(1)
	v_dual_add_f32 v10, v10, v15 :: v_dual_add_f32 v11, v11, v16
	v_dual_add_f32 v8, v8, v13 :: v_dual_cndmask_b32 v17, v17, v18
	v_cmp_eq_u32_e32 vcc_lo, 2, v7
	s_waitcnt lgkmcnt(0)
	v_add_f32_e32 v9, v9, v14
	s_delay_alu instid0(VALU_DEP_3) | instskip(SKIP_1) | instid1(VALU_DEP_2)
	v_cndmask_b32_e32 v17, v17, v19, vcc_lo
	v_cmp_eq_u32_e32 vcc_lo, 3, v7
	v_cndmask_b32_e32 v12, v17, v12, vcc_lo
	v_cmp_eq_u32_e32 vcc_lo, 4, v7
	s_delay_alu instid0(VALU_DEP_2) | instskip(SKIP_1) | instid1(VALU_DEP_2)
	v_cndmask_b32_e32 v11, v12, v11, vcc_lo
	v_cmp_eq_u32_e32 vcc_lo, 5, v7
	v_cndmask_b32_e32 v10, v11, v10, vcc_lo
	v_cmp_eq_u32_e32 vcc_lo, 6, v7
	v_lshlrev_b32_e32 v11, 2, v3
	s_delay_alu instid0(VALU_DEP_3) | instskip(SKIP_1) | instid1(VALU_DEP_3)
	v_cndmask_b32_e32 v9, v10, v9, vcc_lo
	v_cmp_eq_u32_e32 vcc_lo, 7, v7
	v_lshl_or_b32 v10, v7, 7, v11
	s_delay_alu instid0(VALU_DEP_3)
	v_cndmask_b32_e32 v8, v9, v8, vcc_lo
	ds_store_b32 v10, v8
.LBB6_260:
	s_or_b32 exec_lo, exec_lo, s2
	s_waitcnt lgkmcnt(0)
	s_barrier
	buffer_gl0_inv
	s_mov_b32 s2, exec_lo
	v_cmpx_gt_u32_e32 0x80, v0
	s_cbranch_execz .LBB6_273
; %bb.261:
	s_load_b32 s0, s[0:1], 0x2c
	v_and_b32_e32 v8, 15, v0
	v_mov_b32_e32 v0, 0
	s_waitcnt lgkmcnt(0)
	s_and_b32 s0, 0xffff, s0
	s_delay_alu instid0(SALU_CYCLE_1) | instskip(NEXT) | instid1(SALU_CYCLE_1)
	s_lshr_b32 s0, s0, 5
	v_cmp_gt_u32_e32 vcc_lo, s0, v8
	s_and_saveexec_b32 s0, vcc_lo
	s_cbranch_execz .LBB6_263
; %bb.262:
	v_lshlrev_b32_e32 v0, 2, v8
	s_delay_alu instid0(VALU_DEP_1)
	v_and_or_b32 v0, 0x1f80, v33, v0
	ds_load_b32 v0, v0
.LBB6_263:
	s_or_b32 exec_lo, exec_lo, s0
	s_waitcnt lgkmcnt(0)
	ds_bpermute_b32 v2, v2, v0
	v_cmp_eq_u32_e32 vcc_lo, 0, v7
	s_waitcnt lgkmcnt(0)
	v_add_f32_e32 v0, v0, v2
	ds_bpermute_b32 v2, v4, v0
	s_waitcnt lgkmcnt(0)
	v_add_f32_e32 v0, v0, v2
	ds_bpermute_b32 v2, v5, v0
	;; [unrolled: 3-line block ×4, first 2 shown]
	s_and_b32 exec_lo, exec_lo, vcc_lo
	s_cbranch_execz .LBB6_273
; %bb.264:
	v_and_b32_e32 v0, 0x7f800000, v2
	s_delay_alu instid0(VALU_DEP_1) | instskip(SKIP_1) | instid1(SALU_CYCLE_1)
	v_cmp_ne_u32_e32 vcc_lo, 0x7f800000, v0
                                        ; implicit-def: $vgpr0
	s_and_saveexec_b32 s0, vcc_lo
	s_xor_b32 s0, exec_lo, s0
; %bb.265:
	v_bfe_u32 v0, v2, 16, 1
	s_delay_alu instid0(VALU_DEP_1)
	v_add3_u32 v0, v2, v0, 0x7fff
                                        ; implicit-def: $vgpr2
; %bb.266:
	s_and_not1_saveexec_b32 s0, s0
; %bb.267:
	v_and_b32_e32 v0, 0xffff, v2
	v_or_b32_e32 v4, 0x10000, v2
	s_delay_alu instid0(VALU_DEP_2) | instskip(NEXT) | instid1(VALU_DEP_2)
	v_cmp_eq_u32_e32 vcc_lo, 0, v0
	v_cndmask_b32_e32 v0, v4, v2, vcc_lo
; %bb.268:
	s_or_b32 exec_lo, exec_lo, s0
	s_waitcnt lgkmcnt(0)
	v_and_b32_e32 v2, 0x7f800000, v1
	s_delay_alu instid0(VALU_DEP_1) | instskip(SKIP_1) | instid1(SALU_CYCLE_1)
	v_cmp_ne_u32_e32 vcc_lo, 0x7f800000, v2
                                        ; implicit-def: $vgpr2
	s_and_saveexec_b32 s0, vcc_lo
	s_xor_b32 s0, exec_lo, s0
; %bb.269:
	v_bfe_u32 v2, v1, 16, 1
	s_delay_alu instid0(VALU_DEP_1)
	v_add3_u32 v2, v1, v2, 0x7fff
                                        ; implicit-def: $vgpr1
; %bb.270:
	s_and_not1_saveexec_b32 s0, s0
; %bb.271:
	v_and_b32_e32 v2, 0xffff, v1
	v_or_b32_e32 v4, 0x10000, v1
	s_delay_alu instid0(VALU_DEP_2) | instskip(NEXT) | instid1(VALU_DEP_2)
	v_cmp_eq_u32_e32 vcc_lo, 0, v2
	v_cndmask_b32_e32 v2, v4, v1, vcc_lo
; %bb.272:
	s_or_b32 exec_lo, exec_lo, s0
	s_lshl_b32 s0, s15, 2
	v_mov_b32_e32 v4, 0
	v_and_or_b32 v3, 0x7ffffffc, s0, v3
	v_perm_b32 v0, v2, v0, 0x7060302
	s_delay_alu instid0(VALU_DEP_2) | instskip(NEXT) | instid1(VALU_DEP_1)
	v_lshlrev_b64 v[3:4], 2, v[3:4]
	v_add_co_u32 v3, vcc_lo, s8, v3
	s_delay_alu instid0(VALU_DEP_2)
	v_add_co_ci_u32_e32 v4, vcc_lo, s9, v4, vcc_lo
	global_store_b32 v[3:4], v0, off
.LBB6_273:
	s_nop 0
	s_sendmsg sendmsg(MSG_DEALLOC_VGPRS)
	s_endpgm
	.section	.rodata,"a",@progbits
	.p2align	6, 0x0
	.amdhsa_kernel _Z14LLGemm1_kernelIN3c108BFloat16ELi8EEvPKT_S4_PS2_i
		.amdhsa_group_segment_fixed_size 1024
		.amdhsa_private_segment_fixed_size 0
		.amdhsa_kernarg_size 288
		.amdhsa_user_sgpr_count 15
		.amdhsa_user_sgpr_dispatch_ptr 0
		.amdhsa_user_sgpr_queue_ptr 0
		.amdhsa_user_sgpr_kernarg_segment_ptr 1
		.amdhsa_user_sgpr_dispatch_id 0
		.amdhsa_user_sgpr_private_segment_size 0
		.amdhsa_wavefront_size32 1
		.amdhsa_uses_dynamic_stack 0
		.amdhsa_enable_private_segment 0
		.amdhsa_system_sgpr_workgroup_id_x 1
		.amdhsa_system_sgpr_workgroup_id_y 0
		.amdhsa_system_sgpr_workgroup_id_z 0
		.amdhsa_system_sgpr_workgroup_info 0
		.amdhsa_system_vgpr_workitem_id 0
		.amdhsa_next_free_vgpr 45
		.amdhsa_next_free_sgpr 16
		.amdhsa_reserve_vcc 1
		.amdhsa_float_round_mode_32 0
		.amdhsa_float_round_mode_16_64 0
		.amdhsa_float_denorm_mode_32 3
		.amdhsa_float_denorm_mode_16_64 3
		.amdhsa_dx10_clamp 1
		.amdhsa_ieee_mode 1
		.amdhsa_fp16_overflow 0
		.amdhsa_workgroup_processor_mode 1
		.amdhsa_memory_ordered 1
		.amdhsa_forward_progress 0
		.amdhsa_shared_vgpr_count 0
		.amdhsa_exception_fp_ieee_invalid_op 0
		.amdhsa_exception_fp_denorm_src 0
		.amdhsa_exception_fp_ieee_div_zero 0
		.amdhsa_exception_fp_ieee_overflow 0
		.amdhsa_exception_fp_ieee_underflow 0
		.amdhsa_exception_fp_ieee_inexact 0
		.amdhsa_exception_int_div_zero 0
	.end_amdhsa_kernel
	.section	.text._Z14LLGemm1_kernelIN3c108BFloat16ELi8EEvPKT_S4_PS2_i,"axG",@progbits,_Z14LLGemm1_kernelIN3c108BFloat16ELi8EEvPKT_S4_PS2_i,comdat
.Lfunc_end6:
	.size	_Z14LLGemm1_kernelIN3c108BFloat16ELi8EEvPKT_S4_PS2_i, .Lfunc_end6-_Z14LLGemm1_kernelIN3c108BFloat16ELi8EEvPKT_S4_PS2_i
                                        ; -- End function
	.section	.AMDGPU.csdata,"",@progbits
; Kernel info:
; codeLenInByte = 9920
; NumSgprs: 18
; NumVgprs: 45
; ScratchSize: 0
; MemoryBound: 0
; FloatMode: 240
; IeeeMode: 1
; LDSByteSize: 1024 bytes/workgroup (compile time only)
; SGPRBlocks: 2
; VGPRBlocks: 5
; NumSGPRsForWavesPerEU: 18
; NumVGPRsForWavesPerEU: 45
; Occupancy: 16
; WaveLimiterHint : 0
; COMPUTE_PGM_RSRC2:SCRATCH_EN: 0
; COMPUTE_PGM_RSRC2:USER_SGPR: 15
; COMPUTE_PGM_RSRC2:TRAP_HANDLER: 0
; COMPUTE_PGM_RSRC2:TGID_X_EN: 1
; COMPUTE_PGM_RSRC2:TGID_Y_EN: 0
; COMPUTE_PGM_RSRC2:TGID_Z_EN: 0
; COMPUTE_PGM_RSRC2:TIDIG_COMP_CNT: 0
	.section	.text._Z14LLGemm1_kernelIN3c108BFloat16ELi16EEvPKT_S4_PS2_i,"axG",@progbits,_Z14LLGemm1_kernelIN3c108BFloat16ELi16EEvPKT_S4_PS2_i,comdat
	.protected	_Z14LLGemm1_kernelIN3c108BFloat16ELi16EEvPKT_S4_PS2_i ; -- Begin function _Z14LLGemm1_kernelIN3c108BFloat16ELi16EEvPKT_S4_PS2_i
	.globl	_Z14LLGemm1_kernelIN3c108BFloat16ELi16EEvPKT_S4_PS2_i
	.p2align	8
	.type	_Z14LLGemm1_kernelIN3c108BFloat16ELi16EEvPKT_S4_PS2_i,@function
_Z14LLGemm1_kernelIN3c108BFloat16ELi16EEvPKT_S4_PS2_i: ; @_Z14LLGemm1_kernelIN3c108BFloat16ELi16EEvPKT_S4_PS2_i
; %bb.0:
	s_clause 0x2
	s_load_b32 s12, s[0:1], 0x18
	s_load_b128 s[4:7], s[0:1], 0x0
	s_load_b64 s[8:9], s[0:1], 0x10
	v_dual_mov_b32 v70, 0 :: v_dual_lshlrev_b32 v65, 3, v0
	v_dual_mov_b32 v66, 0 :: v_dual_mov_b32 v67, 0
	v_dual_mov_b32 v69, 0 :: v_dual_mov_b32 v68, 0
	;; [unrolled: 1-line block ×3, first 2 shown]
	v_mov_b32_e32 v73, 0
	s_mov_b32 s11, 0
                                        ; implicit-def: $vgpr1
                                        ; implicit-def: $vgpr5
                                        ; implicit-def: $vgpr9
                                        ; implicit-def: $vgpr13
                                        ; implicit-def: $vgpr17
                                        ; implicit-def: $vgpr21
                                        ; implicit-def: $vgpr25
                                        ; implicit-def: $vgpr29
                                        ; implicit-def: $vgpr33
                                        ; implicit-def: $vgpr37
                                        ; implicit-def: $vgpr41
                                        ; implicit-def: $vgpr45
                                        ; implicit-def: $vgpr49
                                        ; implicit-def: $vgpr53
                                        ; implicit-def: $vgpr57
                                        ; implicit-def: $vgpr61
	s_waitcnt lgkmcnt(0)
	v_cmp_gt_i32_e32 vcc_lo, s12, v65
	s_and_saveexec_b32 s3, vcc_lo
	s_cbranch_execz .LBB7_2
; %bb.1:
	s_mul_i32 s2, s15, s12
	s_lshr_b32 s10, s12, 3
	s_lshl_b32 s2, s2, 1
	s_lshl_b64 s[16:17], s[10:11], 4
	s_and_b32 s2, s2, 0x1ffffffe
	s_delay_alu instid0(SALU_CYCLE_1) | instskip(NEXT) | instid1(VALU_DEP_1)
	v_dual_mov_b32 v2, 0 :: v_dual_add_nc_u32 v1, s2, v0
	v_mov_b32_e32 v17, v2
	s_delay_alu instid0(VALU_DEP_2) | instskip(SKIP_1) | instid1(VALU_DEP_2)
	v_add3_u32 v3, s10, s10, v1
	v_lshlrev_b64 v[5:6], 4, v[1:2]
	v_dual_mov_b32 v4, v2 :: v_dual_add_nc_u32 v7, s10, v3
	v_mov_b32_e32 v8, v2
	s_delay_alu instid0(VALU_DEP_2) | instskip(NEXT) | instid1(VALU_DEP_4)
	v_lshlrev_b64 v[9:10], 4, v[3:4]
	v_add_co_u32 v3, s2, s4, v5
	s_delay_alu instid0(VALU_DEP_4) | instskip(SKIP_2) | instid1(VALU_DEP_4)
	v_add_nc_u32_e32 v13, s10, v7
	v_add_co_ci_u32_e64 v4, s2, s5, v6, s2
	v_lshlrev_b64 v[5:6], 4, v[7:8]
	v_add_co_u32 v11, s2, v3, s16
	s_delay_alu instid0(VALU_DEP_1) | instskip(SKIP_3) | instid1(VALU_DEP_1)
	v_add_co_ci_u32_e64 v12, s2, s17, v4, s2
	v_add_nc_u32_e32 v16, s10, v13
	v_mov_b32_e32 v14, v2
	v_add_co_u32 v8, s2, s4, v9
	v_add_co_ci_u32_e64 v9, s2, s5, v10, s2
	s_delay_alu instid0(VALU_DEP_4)
	v_add_nc_u32_e32 v7, s10, v16
	v_add_co_u32 v5, s2, s4, v5
	v_lshlrev_b64 v[14:15], 4, v[13:14]
	v_add_co_ci_u32_e64 v6, s2, s5, v6, s2
	s_clause 0x3
	global_load_b128 v[61:64], v[3:4], off slc dlc
	global_load_b128 v[57:60], v[11:12], off slc dlc
	global_load_b128 v[53:56], v[8:9], off slc dlc
	global_load_b128 v[49:52], v[5:6], off slc dlc
	v_lshlrev_b64 v[3:4], 4, v[16:17]
	v_dual_mov_b32 v8, v2 :: v_dual_add_nc_u32 v9, s10, v7
	v_add_co_u32 v5, s2, s4, v14
	s_delay_alu instid0(VALU_DEP_1) | instskip(NEXT) | instid1(VALU_DEP_4)
	v_add_co_ci_u32_e64 v6, s2, s5, v15, s2
	v_add_co_u32 v3, s2, s4, v3
	s_delay_alu instid0(VALU_DEP_1) | instskip(SKIP_2) | instid1(SALU_CYCLE_1)
	v_add_co_ci_u32_e64 v4, s2, s5, v4, s2
	v_lshlrev_b64 v[7:8], 4, v[7:8]
	s_and_b32 s2, s12, -8
	v_dual_mov_b32 v10, v2 :: v_dual_add_nc_u32 v1, s2, v1
	s_clause 0x1
	global_load_b128 v[45:48], v[5:6], off slc dlc
	global_load_b128 v[41:44], v[3:4], off slc dlc
	v_lshlrev_b32_e32 v13, 4, v0
	v_add_co_u32 v5, s2, s4, v7
	v_lshlrev_b64 v[3:4], 4, v[9:10]
	v_add_co_ci_u32_e64 v6, s2, s5, v8, s2
	v_lshlrev_b64 v[7:8], 4, v[1:2]
	v_lshl_add_u32 v1, s10, 1, v9
	s_delay_alu instid0(VALU_DEP_4) | instskip(NEXT) | instid1(VALU_DEP_1)
	v_add_co_u32 v3, s2, s4, v3
	v_add_co_ci_u32_e64 v4, s2, s5, v4, s2
	s_delay_alu instid0(VALU_DEP_3) | instskip(SKIP_2) | instid1(VALU_DEP_1)
	v_lshlrev_b64 v[9:10], 4, v[1:2]
	v_add_nc_u32_e32 v1, s10, v1
	v_add_co_u32 v7, s2, s4, v7
	v_add_co_ci_u32_e64 v8, s2, s5, v8, s2
	s_delay_alu instid0(VALU_DEP_3) | instskip(SKIP_2) | instid1(VALU_DEP_1)
	v_lshlrev_b64 v[11:12], 4, v[1:2]
	v_add_nc_u32_e32 v1, s10, v1
	v_add_co_u32 v9, s2, s4, v9
	v_add_co_ci_u32_e64 v10, s2, s5, v10, s2
	s_clause 0x3
	global_load_b128 v[37:40], v[5:6], off slc dlc
	global_load_b128 v[33:36], v[3:4], off slc dlc
	;; [unrolled: 1-line block ×4, first 2 shown]
	v_lshlrev_b64 v[3:4], 4, v[1:2]
	v_add_nc_u32_e32 v1, s10, v1
	v_add_co_u32 v5, s2, s4, v11
	s_delay_alu instid0(VALU_DEP_1) | instskip(NEXT) | instid1(VALU_DEP_3)
	v_add_co_ci_u32_e64 v6, s2, s5, v12, s2
	v_lshlrev_b64 v[7:8], 4, v[1:2]
	v_add_nc_u32_e32 v1, s10, v1
	v_add_co_u32 v3, s2, s4, v3
	s_delay_alu instid0(VALU_DEP_1) | instskip(NEXT) | instid1(VALU_DEP_3)
	v_add_co_ci_u32_e64 v4, s2, s5, v4, s2
	;; [unrolled: 5-line block ×4, first 2 shown]
	v_lshlrev_b64 v[1:2], 4, v[1:2]
	v_add_co_u32 v66, s2, s4, v11
	s_delay_alu instid0(VALU_DEP_1) | instskip(SKIP_2) | instid1(VALU_DEP_1)
	v_add_co_ci_u32_e64 v67, s2, s5, v12, s2
	global_load_b128 v[73:76], v13, s[6:7]
	v_add_co_u32 v1, s2, s4, v1
	v_add_co_ci_u32_e64 v2, s2, s5, v2, s2
	s_clause 0x5
	global_load_b128 v[21:24], v[5:6], off slc dlc
	global_load_b128 v[17:20], v[3:4], off slc dlc
	;; [unrolled: 1-line block ×6, first 2 shown]
	s_waitcnt vmcnt(6)
	v_and_b32_e32 v72, 0xffff0000, v73
	v_lshlrev_b32_e32 v73, 16, v73
	v_and_b32_e32 v70, 0xffff0000, v74
	v_lshlrev_b32_e32 v71, 16, v74
	;; [unrolled: 2-line block ×4, first 2 shown]
.LBB7_2:
	s_or_b32 exec_lo, exec_lo, s3
	v_lshlrev_b32_e32 v74, 16, v61
	s_delay_alu instid0(VALU_DEP_1) | instskip(NEXT) | instid1(VALU_DEP_1)
	v_mul_f32_e32 v75, v73, v74
	v_and_b32_e32 v74, 0x7f800000, v75
	s_delay_alu instid0(VALU_DEP_1) | instskip(NEXT) | instid1(VALU_DEP_1)
	v_cmp_ne_u32_e64 s2, 0x7f800000, v74
                                        ; implicit-def: $vgpr74
	s_and_saveexec_b32 s3, s2
	s_delay_alu instid0(SALU_CYCLE_1)
	s_xor_b32 s2, exec_lo, s3
; %bb.3:
	v_bfe_u32 v74, v75, 16, 1
	s_delay_alu instid0(VALU_DEP_1)
	v_add3_u32 v74, v75, v74, 0x7fff
                                        ; implicit-def: $vgpr75
; %bb.4:
	s_and_not1_saveexec_b32 s3, s2
; %bb.5:
	v_and_b32_e32 v74, 0xffff, v75
	v_or_b32_e32 v76, 0x10000, v75
	s_delay_alu instid0(VALU_DEP_2) | instskip(NEXT) | instid1(VALU_DEP_1)
	v_cmp_eq_u32_e64 s2, 0, v74
	v_cndmask_b32_e64 v74, v76, v75, s2
; %bb.6:
	s_or_b32 exec_lo, exec_lo, s3
	v_and_b32_e32 v61, 0xffff0000, v61
	s_delay_alu instid0(VALU_DEP_1) | instskip(NEXT) | instid1(VALU_DEP_1)
	v_mul_f32_e32 v75, v72, v61
	v_and_b32_e32 v61, 0x7f800000, v75
	s_delay_alu instid0(VALU_DEP_1) | instskip(NEXT) | instid1(VALU_DEP_1)
	v_cmp_ne_u32_e64 s2, 0x7f800000, v61
                                        ; implicit-def: $vgpr61
	s_and_saveexec_b32 s3, s2
	s_delay_alu instid0(SALU_CYCLE_1)
	s_xor_b32 s2, exec_lo, s3
; %bb.7:
	v_bfe_u32 v61, v75, 16, 1
	s_delay_alu instid0(VALU_DEP_1)
	v_add3_u32 v61, v75, v61, 0x7fff
                                        ; implicit-def: $vgpr75
; %bb.8:
	s_and_not1_saveexec_b32 s3, s2
; %bb.9:
	v_and_b32_e32 v61, 0xffff, v75
	v_or_b32_e32 v76, 0x10000, v75
	s_delay_alu instid0(VALU_DEP_2) | instskip(NEXT) | instid1(VALU_DEP_1)
	v_cmp_eq_u32_e64 s2, 0, v61
	v_cndmask_b32_e64 v61, v76, v75, s2
; %bb.10:
	s_or_b32 exec_lo, exec_lo, s3
	v_and_b32_e32 v75, 0xffff0000, v74
	v_lshlrev_b32_e32 v74, 16, v62
	s_delay_alu instid0(VALU_DEP_1) | instskip(NEXT) | instid1(VALU_DEP_1)
	v_fmac_f32_e32 v75, v74, v71
	v_and_b32_e32 v74, 0x7f800000, v75
	s_delay_alu instid0(VALU_DEP_1) | instskip(NEXT) | instid1(VALU_DEP_1)
	v_cmp_ne_u32_e64 s2, 0x7f800000, v74
                                        ; implicit-def: $vgpr74
	s_and_saveexec_b32 s3, s2
	s_delay_alu instid0(SALU_CYCLE_1)
	s_xor_b32 s2, exec_lo, s3
; %bb.11:
	v_bfe_u32 v74, v75, 16, 1
	s_delay_alu instid0(VALU_DEP_1)
	v_add3_u32 v74, v75, v74, 0x7fff
                                        ; implicit-def: $vgpr75
; %bb.12:
	s_and_not1_saveexec_b32 s3, s2
; %bb.13:
	v_and_b32_e32 v74, 0xffff, v75
	v_or_b32_e32 v76, 0x10000, v75
	s_delay_alu instid0(VALU_DEP_2) | instskip(NEXT) | instid1(VALU_DEP_1)
	v_cmp_eq_u32_e64 s2, 0, v74
	v_cndmask_b32_e64 v74, v76, v75, s2
; %bb.14:
	s_or_b32 exec_lo, exec_lo, s3
	v_and_b32_e32 v75, 0xffff0000, v61
	v_and_b32_e32 v61, 0xffff0000, v62
	s_delay_alu instid0(VALU_DEP_1) | instskip(NEXT) | instid1(VALU_DEP_1)
	v_fmac_f32_e32 v75, v61, v70
	v_and_b32_e32 v61, 0x7f800000, v75
	s_delay_alu instid0(VALU_DEP_1) | instskip(NEXT) | instid1(VALU_DEP_1)
	v_cmp_ne_u32_e64 s2, 0x7f800000, v61
                                        ; implicit-def: $vgpr61
	s_and_saveexec_b32 s3, s2
	s_delay_alu instid0(SALU_CYCLE_1)
	s_xor_b32 s2, exec_lo, s3
; %bb.15:
	v_bfe_u32 v61, v75, 16, 1
	s_delay_alu instid0(VALU_DEP_1)
	v_add3_u32 v61, v75, v61, 0x7fff
                                        ; implicit-def: $vgpr75
; %bb.16:
	s_and_not1_saveexec_b32 s3, s2
; %bb.17:
	v_and_b32_e32 v61, 0xffff, v75
	v_or_b32_e32 v62, 0x10000, v75
	s_delay_alu instid0(VALU_DEP_2) | instskip(NEXT) | instid1(VALU_DEP_1)
	v_cmp_eq_u32_e64 s2, 0, v61
	v_cndmask_b32_e64 v61, v62, v75, s2
; %bb.18:
	s_or_b32 exec_lo, exec_lo, s3
	v_and_b32_e32 v74, 0xffff0000, v74
	v_lshlrev_b32_e32 v62, 16, v63
	s_delay_alu instid0(VALU_DEP_1) | instskip(NEXT) | instid1(VALU_DEP_1)
	v_fmac_f32_e32 v74, v62, v69
	v_and_b32_e32 v62, 0x7f800000, v74
	s_delay_alu instid0(VALU_DEP_1) | instskip(NEXT) | instid1(VALU_DEP_1)
	v_cmp_ne_u32_e64 s2, 0x7f800000, v62
                                        ; implicit-def: $vgpr62
	s_and_saveexec_b32 s3, s2
	s_delay_alu instid0(SALU_CYCLE_1)
	s_xor_b32 s2, exec_lo, s3
; %bb.19:
	v_bfe_u32 v62, v74, 16, 1
	s_delay_alu instid0(VALU_DEP_1)
	v_add3_u32 v62, v74, v62, 0x7fff
                                        ; implicit-def: $vgpr74
; %bb.20:
	s_and_not1_saveexec_b32 s3, s2
; %bb.21:
	v_and_b32_e32 v62, 0xffff, v74
	v_or_b32_e32 v75, 0x10000, v74
	s_delay_alu instid0(VALU_DEP_2) | instskip(NEXT) | instid1(VALU_DEP_1)
	v_cmp_eq_u32_e64 s2, 0, v62
	v_cndmask_b32_e64 v62, v75, v74, s2
; %bb.22:
	s_or_b32 exec_lo, exec_lo, s3
	v_and_b32_e32 v61, 0xffff0000, v61
	v_and_b32_e32 v63, 0xffff0000, v63
	s_delay_alu instid0(VALU_DEP_1) | instskip(NEXT) | instid1(VALU_DEP_1)
	v_fmac_f32_e32 v61, v63, v68
	v_and_b32_e32 v63, 0x7f800000, v61
	s_delay_alu instid0(VALU_DEP_1) | instskip(NEXT) | instid1(VALU_DEP_1)
	v_cmp_ne_u32_e64 s2, 0x7f800000, v63
                                        ; implicit-def: $vgpr63
	s_and_saveexec_b32 s3, s2
	s_delay_alu instid0(SALU_CYCLE_1)
	s_xor_b32 s2, exec_lo, s3
; %bb.23:
	v_bfe_u32 v63, v61, 16, 1
	s_delay_alu instid0(VALU_DEP_1)
	v_add3_u32 v63, v61, v63, 0x7fff
                                        ; implicit-def: $vgpr61
; %bb.24:
	s_and_not1_saveexec_b32 s3, s2
; %bb.25:
	v_and_b32_e32 v63, 0xffff, v61
	v_or_b32_e32 v74, 0x10000, v61
	s_delay_alu instid0(VALU_DEP_2) | instskip(NEXT) | instid1(VALU_DEP_1)
	v_cmp_eq_u32_e64 s2, 0, v63
	v_cndmask_b32_e64 v63, v74, v61, s2
; %bb.26:
	s_or_b32 exec_lo, exec_lo, s3
	v_and_b32_e32 v62, 0xffff0000, v62
	v_lshlrev_b32_e32 v61, 16, v64
	s_delay_alu instid0(VALU_DEP_1) | instskip(NEXT) | instid1(VALU_DEP_1)
	v_fmac_f32_e32 v62, v61, v66
	v_and_b32_e32 v61, 0x7f800000, v62
	s_delay_alu instid0(VALU_DEP_1) | instskip(NEXT) | instid1(VALU_DEP_1)
	v_cmp_ne_u32_e64 s2, 0x7f800000, v61
                                        ; implicit-def: $vgpr61
	s_and_saveexec_b32 s3, s2
	s_delay_alu instid0(SALU_CYCLE_1)
	s_xor_b32 s2, exec_lo, s3
; %bb.27:
	v_bfe_u32 v61, v62, 16, 1
	s_delay_alu instid0(VALU_DEP_1)
	v_add3_u32 v61, v62, v61, 0x7fff
                                        ; implicit-def: $vgpr62
; %bb.28:
	s_and_not1_saveexec_b32 s3, s2
; %bb.29:
	v_and_b32_e32 v61, 0xffff, v62
	v_or_b32_e32 v74, 0x10000, v62
	s_delay_alu instid0(VALU_DEP_2) | instskip(NEXT) | instid1(VALU_DEP_1)
	v_cmp_eq_u32_e64 s2, 0, v61
	v_cndmask_b32_e64 v61, v74, v62, s2
; %bb.30:
	s_or_b32 exec_lo, exec_lo, s3
	v_and_b32_e32 v63, 0xffff0000, v63
	v_and_b32_e32 v62, 0xffff0000, v64
	s_delay_alu instid0(VALU_DEP_1) | instskip(NEXT) | instid1(VALU_DEP_1)
	v_fmac_f32_e32 v63, v62, v67
	v_and_b32_e32 v62, 0x7f800000, v63
	s_delay_alu instid0(VALU_DEP_1) | instskip(NEXT) | instid1(VALU_DEP_1)
	v_cmp_ne_u32_e64 s2, 0x7f800000, v62
                                        ; implicit-def: $vgpr62
	s_and_saveexec_b32 s3, s2
	s_delay_alu instid0(SALU_CYCLE_1)
	s_xor_b32 s2, exec_lo, s3
; %bb.31:
	v_bfe_u32 v62, v63, 16, 1
	s_delay_alu instid0(VALU_DEP_1)
	v_add3_u32 v62, v63, v62, 0x7fff
                                        ; implicit-def: $vgpr63
; %bb.32:
	s_and_not1_saveexec_b32 s3, s2
; %bb.33:
	v_and_b32_e32 v62, 0xffff, v63
	v_or_b32_e32 v64, 0x10000, v63
	s_delay_alu instid0(VALU_DEP_2) | instskip(NEXT) | instid1(VALU_DEP_1)
	v_cmp_eq_u32_e64 s2, 0, v62
	v_cndmask_b32_e64 v62, v64, v63, s2
; %bb.34:
	s_or_b32 exec_lo, exec_lo, s3
	v_lshlrev_b32_e32 v63, 16, v57
	s_delay_alu instid0(VALU_DEP_1) | instskip(NEXT) | instid1(VALU_DEP_1)
	v_mul_f32_e32 v64, v73, v63
	v_and_b32_e32 v63, 0x7f800000, v64
	s_delay_alu instid0(VALU_DEP_1) | instskip(NEXT) | instid1(VALU_DEP_1)
	v_cmp_ne_u32_e64 s2, 0x7f800000, v63
                                        ; implicit-def: $vgpr63
	s_and_saveexec_b32 s3, s2
	s_delay_alu instid0(SALU_CYCLE_1)
	s_xor_b32 s2, exec_lo, s3
; %bb.35:
	v_bfe_u32 v63, v64, 16, 1
	s_delay_alu instid0(VALU_DEP_1)
	v_add3_u32 v63, v64, v63, 0x7fff
                                        ; implicit-def: $vgpr64
; %bb.36:
	s_and_not1_saveexec_b32 s3, s2
; %bb.37:
	v_and_b32_e32 v63, 0xffff, v64
	v_or_b32_e32 v74, 0x10000, v64
	s_delay_alu instid0(VALU_DEP_2) | instskip(NEXT) | instid1(VALU_DEP_1)
	v_cmp_eq_u32_e64 s2, 0, v63
	v_cndmask_b32_e64 v63, v74, v64, s2
; %bb.38:
	s_or_b32 exec_lo, exec_lo, s3
	v_and_b32_e32 v57, 0xffff0000, v57
	s_delay_alu instid0(VALU_DEP_1) | instskip(NEXT) | instid1(VALU_DEP_1)
	v_mul_f32_e32 v64, v72, v57
	v_and_b32_e32 v57, 0x7f800000, v64
	s_delay_alu instid0(VALU_DEP_1) | instskip(NEXT) | instid1(VALU_DEP_1)
	v_cmp_ne_u32_e64 s2, 0x7f800000, v57
                                        ; implicit-def: $vgpr57
	s_and_saveexec_b32 s3, s2
	s_delay_alu instid0(SALU_CYCLE_1)
	s_xor_b32 s2, exec_lo, s3
; %bb.39:
	v_bfe_u32 v57, v64, 16, 1
	s_delay_alu instid0(VALU_DEP_1)
	v_add3_u32 v57, v64, v57, 0x7fff
                                        ; implicit-def: $vgpr64
; %bb.40:
	s_and_not1_saveexec_b32 s3, s2
; %bb.41:
	v_and_b32_e32 v57, 0xffff, v64
	v_or_b32_e32 v74, 0x10000, v64
	s_delay_alu instid0(VALU_DEP_2) | instskip(NEXT) | instid1(VALU_DEP_1)
	v_cmp_eq_u32_e64 s2, 0, v57
	v_cndmask_b32_e64 v57, v74, v64, s2
; %bb.42:
	s_or_b32 exec_lo, exec_lo, s3
	v_and_b32_e32 v64, 0xffff0000, v63
	v_lshlrev_b32_e32 v63, 16, v58
	s_delay_alu instid0(VALU_DEP_1) | instskip(NEXT) | instid1(VALU_DEP_1)
	v_fmac_f32_e32 v64, v63, v71
	v_and_b32_e32 v63, 0x7f800000, v64
	s_delay_alu instid0(VALU_DEP_1) | instskip(NEXT) | instid1(VALU_DEP_1)
	v_cmp_ne_u32_e64 s2, 0x7f800000, v63
                                        ; implicit-def: $vgpr63
	s_and_saveexec_b32 s3, s2
	s_delay_alu instid0(SALU_CYCLE_1)
	s_xor_b32 s2, exec_lo, s3
; %bb.43:
	v_bfe_u32 v63, v64, 16, 1
	s_delay_alu instid0(VALU_DEP_1)
	v_add3_u32 v63, v64, v63, 0x7fff
                                        ; implicit-def: $vgpr64
; %bb.44:
	s_and_not1_saveexec_b32 s3, s2
; %bb.45:
	v_and_b32_e32 v63, 0xffff, v64
	v_or_b32_e32 v74, 0x10000, v64
	s_delay_alu instid0(VALU_DEP_2) | instskip(NEXT) | instid1(VALU_DEP_1)
	v_cmp_eq_u32_e64 s2, 0, v63
	v_cndmask_b32_e64 v63, v74, v64, s2
; %bb.46:
	s_or_b32 exec_lo, exec_lo, s3
	v_and_b32_e32 v64, 0xffff0000, v57
	v_and_b32_e32 v57, 0xffff0000, v58
	s_delay_alu instid0(VALU_DEP_1) | instskip(NEXT) | instid1(VALU_DEP_1)
	v_fmac_f32_e32 v64, v57, v70
	v_and_b32_e32 v57, 0x7f800000, v64
	s_delay_alu instid0(VALU_DEP_1) | instskip(NEXT) | instid1(VALU_DEP_1)
	v_cmp_ne_u32_e64 s2, 0x7f800000, v57
                                        ; implicit-def: $vgpr57
	s_and_saveexec_b32 s3, s2
	s_delay_alu instid0(SALU_CYCLE_1)
	s_xor_b32 s2, exec_lo, s3
; %bb.47:
	v_bfe_u32 v57, v64, 16, 1
	s_delay_alu instid0(VALU_DEP_1)
	v_add3_u32 v57, v64, v57, 0x7fff
                                        ; implicit-def: $vgpr64
; %bb.48:
	s_and_not1_saveexec_b32 s3, s2
; %bb.49:
	v_and_b32_e32 v57, 0xffff, v64
	v_or_b32_e32 v58, 0x10000, v64
	s_delay_alu instid0(VALU_DEP_2) | instskip(NEXT) | instid1(VALU_DEP_1)
	v_cmp_eq_u32_e64 s2, 0, v57
	v_cndmask_b32_e64 v57, v58, v64, s2
; %bb.50:
	s_or_b32 exec_lo, exec_lo, s3
	v_and_b32_e32 v63, 0xffff0000, v63
	v_lshlrev_b32_e32 v58, 16, v59
	s_delay_alu instid0(VALU_DEP_1) | instskip(NEXT) | instid1(VALU_DEP_1)
	v_fmac_f32_e32 v63, v58, v69
	v_and_b32_e32 v58, 0x7f800000, v63
	s_delay_alu instid0(VALU_DEP_1) | instskip(NEXT) | instid1(VALU_DEP_1)
	v_cmp_ne_u32_e64 s2, 0x7f800000, v58
                                        ; implicit-def: $vgpr58
	s_and_saveexec_b32 s3, s2
	s_delay_alu instid0(SALU_CYCLE_1)
	s_xor_b32 s2, exec_lo, s3
; %bb.51:
	v_bfe_u32 v58, v63, 16, 1
	s_delay_alu instid0(VALU_DEP_1)
	v_add3_u32 v58, v63, v58, 0x7fff
                                        ; implicit-def: $vgpr63
; %bb.52:
	s_and_not1_saveexec_b32 s3, s2
; %bb.53:
	v_and_b32_e32 v58, 0xffff, v63
	v_or_b32_e32 v64, 0x10000, v63
	s_delay_alu instid0(VALU_DEP_2) | instskip(NEXT) | instid1(VALU_DEP_1)
	v_cmp_eq_u32_e64 s2, 0, v58
	v_cndmask_b32_e64 v58, v64, v63, s2
; %bb.54:
	s_or_b32 exec_lo, exec_lo, s3
	v_and_b32_e32 v57, 0xffff0000, v57
	v_and_b32_e32 v59, 0xffff0000, v59
	s_delay_alu instid0(VALU_DEP_1) | instskip(NEXT) | instid1(VALU_DEP_1)
	v_fmac_f32_e32 v57, v59, v68
	v_and_b32_e32 v59, 0x7f800000, v57
	s_delay_alu instid0(VALU_DEP_1) | instskip(NEXT) | instid1(VALU_DEP_1)
	v_cmp_ne_u32_e64 s2, 0x7f800000, v59
                                        ; implicit-def: $vgpr59
	s_and_saveexec_b32 s3, s2
	s_delay_alu instid0(SALU_CYCLE_1)
	s_xor_b32 s2, exec_lo, s3
; %bb.55:
	v_bfe_u32 v59, v57, 16, 1
	s_delay_alu instid0(VALU_DEP_1)
	v_add3_u32 v59, v57, v59, 0x7fff
                                        ; implicit-def: $vgpr57
; %bb.56:
	s_and_not1_saveexec_b32 s3, s2
; %bb.57:
	v_and_b32_e32 v59, 0xffff, v57
	v_or_b32_e32 v63, 0x10000, v57
	s_delay_alu instid0(VALU_DEP_2) | instskip(NEXT) | instid1(VALU_DEP_1)
	v_cmp_eq_u32_e64 s2, 0, v59
	v_cndmask_b32_e64 v59, v63, v57, s2
; %bb.58:
	s_or_b32 exec_lo, exec_lo, s3
	v_and_b32_e32 v58, 0xffff0000, v58
	v_lshlrev_b32_e32 v57, 16, v60
	s_delay_alu instid0(VALU_DEP_1) | instskip(NEXT) | instid1(VALU_DEP_1)
	v_fmac_f32_e32 v58, v57, v66
	v_and_b32_e32 v57, 0x7f800000, v58
	s_delay_alu instid0(VALU_DEP_1) | instskip(NEXT) | instid1(VALU_DEP_1)
	v_cmp_ne_u32_e64 s2, 0x7f800000, v57
                                        ; implicit-def: $vgpr57
	s_and_saveexec_b32 s3, s2
	s_delay_alu instid0(SALU_CYCLE_1)
	s_xor_b32 s2, exec_lo, s3
; %bb.59:
	v_bfe_u32 v57, v58, 16, 1
	s_delay_alu instid0(VALU_DEP_1)
	v_add3_u32 v57, v58, v57, 0x7fff
                                        ; implicit-def: $vgpr58
; %bb.60:
	s_and_not1_saveexec_b32 s3, s2
; %bb.61:
	v_and_b32_e32 v57, 0xffff, v58
	v_or_b32_e32 v63, 0x10000, v58
	s_delay_alu instid0(VALU_DEP_2) | instskip(NEXT) | instid1(VALU_DEP_1)
	v_cmp_eq_u32_e64 s2, 0, v57
	v_cndmask_b32_e64 v57, v63, v58, s2
; %bb.62:
	s_or_b32 exec_lo, exec_lo, s3
	v_and_b32_e32 v59, 0xffff0000, v59
	v_and_b32_e32 v58, 0xffff0000, v60
	s_delay_alu instid0(VALU_DEP_1) | instskip(NEXT) | instid1(VALU_DEP_1)
	v_fmac_f32_e32 v59, v58, v67
	v_and_b32_e32 v58, 0x7f800000, v59
	s_delay_alu instid0(VALU_DEP_1) | instskip(NEXT) | instid1(VALU_DEP_1)
	v_cmp_ne_u32_e64 s2, 0x7f800000, v58
                                        ; implicit-def: $vgpr58
	s_and_saveexec_b32 s3, s2
	s_delay_alu instid0(SALU_CYCLE_1)
	s_xor_b32 s2, exec_lo, s3
; %bb.63:
	v_bfe_u32 v58, v59, 16, 1
	s_delay_alu instid0(VALU_DEP_1)
	v_add3_u32 v58, v59, v58, 0x7fff
                                        ; implicit-def: $vgpr59
; %bb.64:
	s_and_not1_saveexec_b32 s3, s2
; %bb.65:
	v_and_b32_e32 v58, 0xffff, v59
	v_or_b32_e32 v60, 0x10000, v59
	s_delay_alu instid0(VALU_DEP_2) | instskip(NEXT) | instid1(VALU_DEP_1)
	v_cmp_eq_u32_e64 s2, 0, v58
	v_cndmask_b32_e64 v58, v60, v59, s2
; %bb.66:
	s_or_b32 exec_lo, exec_lo, s3
	v_lshlrev_b32_e32 v59, 16, v53
	s_delay_alu instid0(VALU_DEP_1) | instskip(NEXT) | instid1(VALU_DEP_1)
	v_mul_f32_e32 v60, v73, v59
	v_and_b32_e32 v59, 0x7f800000, v60
	s_delay_alu instid0(VALU_DEP_1) | instskip(NEXT) | instid1(VALU_DEP_1)
	v_cmp_ne_u32_e64 s2, 0x7f800000, v59
                                        ; implicit-def: $vgpr59
	s_and_saveexec_b32 s3, s2
	s_delay_alu instid0(SALU_CYCLE_1)
	s_xor_b32 s2, exec_lo, s3
; %bb.67:
	v_bfe_u32 v59, v60, 16, 1
	s_delay_alu instid0(VALU_DEP_1)
	v_add3_u32 v59, v60, v59, 0x7fff
                                        ; implicit-def: $vgpr60
; %bb.68:
	s_and_not1_saveexec_b32 s3, s2
; %bb.69:
	v_and_b32_e32 v59, 0xffff, v60
	v_or_b32_e32 v63, 0x10000, v60
	s_delay_alu instid0(VALU_DEP_2) | instskip(NEXT) | instid1(VALU_DEP_1)
	v_cmp_eq_u32_e64 s2, 0, v59
	v_cndmask_b32_e64 v59, v63, v60, s2
; %bb.70:
	s_or_b32 exec_lo, exec_lo, s3
	v_and_b32_e32 v53, 0xffff0000, v53
	s_delay_alu instid0(VALU_DEP_1) | instskip(NEXT) | instid1(VALU_DEP_1)
	v_mul_f32_e32 v60, v72, v53
	v_and_b32_e32 v53, 0x7f800000, v60
	s_delay_alu instid0(VALU_DEP_1) | instskip(NEXT) | instid1(VALU_DEP_1)
	v_cmp_ne_u32_e64 s2, 0x7f800000, v53
                                        ; implicit-def: $vgpr53
	s_and_saveexec_b32 s3, s2
	s_delay_alu instid0(SALU_CYCLE_1)
	s_xor_b32 s2, exec_lo, s3
; %bb.71:
	v_bfe_u32 v53, v60, 16, 1
	s_delay_alu instid0(VALU_DEP_1)
	v_add3_u32 v53, v60, v53, 0x7fff
                                        ; implicit-def: $vgpr60
; %bb.72:
	s_and_not1_saveexec_b32 s3, s2
; %bb.73:
	v_and_b32_e32 v53, 0xffff, v60
	v_or_b32_e32 v63, 0x10000, v60
	s_delay_alu instid0(VALU_DEP_2) | instskip(NEXT) | instid1(VALU_DEP_1)
	v_cmp_eq_u32_e64 s2, 0, v53
	v_cndmask_b32_e64 v53, v63, v60, s2
; %bb.74:
	s_or_b32 exec_lo, exec_lo, s3
	v_and_b32_e32 v60, 0xffff0000, v59
	v_lshlrev_b32_e32 v59, 16, v54
	s_delay_alu instid0(VALU_DEP_1) | instskip(NEXT) | instid1(VALU_DEP_1)
	v_fmac_f32_e32 v60, v59, v71
	v_and_b32_e32 v59, 0x7f800000, v60
	s_delay_alu instid0(VALU_DEP_1) | instskip(NEXT) | instid1(VALU_DEP_1)
	v_cmp_ne_u32_e64 s2, 0x7f800000, v59
                                        ; implicit-def: $vgpr59
	s_and_saveexec_b32 s3, s2
	s_delay_alu instid0(SALU_CYCLE_1)
	s_xor_b32 s2, exec_lo, s3
; %bb.75:
	v_bfe_u32 v59, v60, 16, 1
	s_delay_alu instid0(VALU_DEP_1)
	v_add3_u32 v59, v60, v59, 0x7fff
                                        ; implicit-def: $vgpr60
; %bb.76:
	s_and_not1_saveexec_b32 s3, s2
; %bb.77:
	v_and_b32_e32 v59, 0xffff, v60
	v_or_b32_e32 v63, 0x10000, v60
	s_delay_alu instid0(VALU_DEP_2) | instskip(NEXT) | instid1(VALU_DEP_1)
	v_cmp_eq_u32_e64 s2, 0, v59
	v_cndmask_b32_e64 v59, v63, v60, s2
; %bb.78:
	s_or_b32 exec_lo, exec_lo, s3
	v_and_b32_e32 v60, 0xffff0000, v53
	v_and_b32_e32 v53, 0xffff0000, v54
	s_delay_alu instid0(VALU_DEP_1) | instskip(NEXT) | instid1(VALU_DEP_1)
	v_fmac_f32_e32 v60, v53, v70
	v_and_b32_e32 v53, 0x7f800000, v60
	s_delay_alu instid0(VALU_DEP_1) | instskip(NEXT) | instid1(VALU_DEP_1)
	v_cmp_ne_u32_e64 s2, 0x7f800000, v53
                                        ; implicit-def: $vgpr53
	s_and_saveexec_b32 s3, s2
	s_delay_alu instid0(SALU_CYCLE_1)
	s_xor_b32 s2, exec_lo, s3
; %bb.79:
	v_bfe_u32 v53, v60, 16, 1
	s_delay_alu instid0(VALU_DEP_1)
	v_add3_u32 v53, v60, v53, 0x7fff
                                        ; implicit-def: $vgpr60
; %bb.80:
	s_and_not1_saveexec_b32 s3, s2
; %bb.81:
	v_and_b32_e32 v53, 0xffff, v60
	v_or_b32_e32 v54, 0x10000, v60
	s_delay_alu instid0(VALU_DEP_2) | instskip(NEXT) | instid1(VALU_DEP_1)
	v_cmp_eq_u32_e64 s2, 0, v53
	v_cndmask_b32_e64 v53, v54, v60, s2
; %bb.82:
	s_or_b32 exec_lo, exec_lo, s3
	v_and_b32_e32 v59, 0xffff0000, v59
	v_lshlrev_b32_e32 v54, 16, v55
	s_delay_alu instid0(VALU_DEP_1) | instskip(NEXT) | instid1(VALU_DEP_1)
	v_fmac_f32_e32 v59, v54, v69
	v_and_b32_e32 v54, 0x7f800000, v59
	s_delay_alu instid0(VALU_DEP_1) | instskip(NEXT) | instid1(VALU_DEP_1)
	v_cmp_ne_u32_e64 s2, 0x7f800000, v54
                                        ; implicit-def: $vgpr54
	s_and_saveexec_b32 s3, s2
	s_delay_alu instid0(SALU_CYCLE_1)
	s_xor_b32 s2, exec_lo, s3
; %bb.83:
	v_bfe_u32 v54, v59, 16, 1
	s_delay_alu instid0(VALU_DEP_1)
	v_add3_u32 v54, v59, v54, 0x7fff
                                        ; implicit-def: $vgpr59
; %bb.84:
	s_and_not1_saveexec_b32 s3, s2
; %bb.85:
	v_and_b32_e32 v54, 0xffff, v59
	v_or_b32_e32 v60, 0x10000, v59
	s_delay_alu instid0(VALU_DEP_2) | instskip(NEXT) | instid1(VALU_DEP_1)
	v_cmp_eq_u32_e64 s2, 0, v54
	v_cndmask_b32_e64 v54, v60, v59, s2
; %bb.86:
	s_or_b32 exec_lo, exec_lo, s3
	v_and_b32_e32 v53, 0xffff0000, v53
	v_and_b32_e32 v55, 0xffff0000, v55
	s_delay_alu instid0(VALU_DEP_1) | instskip(NEXT) | instid1(VALU_DEP_1)
	v_fmac_f32_e32 v53, v55, v68
	v_and_b32_e32 v55, 0x7f800000, v53
	s_delay_alu instid0(VALU_DEP_1) | instskip(NEXT) | instid1(VALU_DEP_1)
	v_cmp_ne_u32_e64 s2, 0x7f800000, v55
                                        ; implicit-def: $vgpr55
	s_and_saveexec_b32 s3, s2
	s_delay_alu instid0(SALU_CYCLE_1)
	s_xor_b32 s2, exec_lo, s3
; %bb.87:
	v_bfe_u32 v55, v53, 16, 1
	s_delay_alu instid0(VALU_DEP_1)
	v_add3_u32 v55, v53, v55, 0x7fff
                                        ; implicit-def: $vgpr53
; %bb.88:
	s_and_not1_saveexec_b32 s3, s2
; %bb.89:
	v_and_b32_e32 v55, 0xffff, v53
	v_or_b32_e32 v59, 0x10000, v53
	s_delay_alu instid0(VALU_DEP_2) | instskip(NEXT) | instid1(VALU_DEP_1)
	v_cmp_eq_u32_e64 s2, 0, v55
	v_cndmask_b32_e64 v55, v59, v53, s2
; %bb.90:
	s_or_b32 exec_lo, exec_lo, s3
	v_and_b32_e32 v54, 0xffff0000, v54
	v_lshlrev_b32_e32 v53, 16, v56
	s_delay_alu instid0(VALU_DEP_1) | instskip(NEXT) | instid1(VALU_DEP_1)
	v_fmac_f32_e32 v54, v53, v66
	v_and_b32_e32 v53, 0x7f800000, v54
	s_delay_alu instid0(VALU_DEP_1) | instskip(NEXT) | instid1(VALU_DEP_1)
	v_cmp_ne_u32_e64 s2, 0x7f800000, v53
                                        ; implicit-def: $vgpr53
	s_and_saveexec_b32 s3, s2
	s_delay_alu instid0(SALU_CYCLE_1)
	s_xor_b32 s2, exec_lo, s3
; %bb.91:
	v_bfe_u32 v53, v54, 16, 1
	s_delay_alu instid0(VALU_DEP_1)
	v_add3_u32 v53, v54, v53, 0x7fff
                                        ; implicit-def: $vgpr54
; %bb.92:
	s_and_not1_saveexec_b32 s3, s2
; %bb.93:
	v_and_b32_e32 v53, 0xffff, v54
	v_or_b32_e32 v59, 0x10000, v54
	s_delay_alu instid0(VALU_DEP_2) | instskip(NEXT) | instid1(VALU_DEP_1)
	v_cmp_eq_u32_e64 s2, 0, v53
	v_cndmask_b32_e64 v53, v59, v54, s2
; %bb.94:
	s_or_b32 exec_lo, exec_lo, s3
	v_and_b32_e32 v55, 0xffff0000, v55
	v_and_b32_e32 v54, 0xffff0000, v56
	s_delay_alu instid0(VALU_DEP_1) | instskip(NEXT) | instid1(VALU_DEP_1)
	v_fmac_f32_e32 v55, v54, v67
	v_and_b32_e32 v54, 0x7f800000, v55
	s_delay_alu instid0(VALU_DEP_1) | instskip(NEXT) | instid1(VALU_DEP_1)
	v_cmp_ne_u32_e64 s2, 0x7f800000, v54
                                        ; implicit-def: $vgpr54
	s_and_saveexec_b32 s3, s2
	s_delay_alu instid0(SALU_CYCLE_1)
	s_xor_b32 s2, exec_lo, s3
; %bb.95:
	v_bfe_u32 v54, v55, 16, 1
	s_delay_alu instid0(VALU_DEP_1)
	v_add3_u32 v54, v55, v54, 0x7fff
                                        ; implicit-def: $vgpr55
; %bb.96:
	s_and_not1_saveexec_b32 s3, s2
; %bb.97:
	v_and_b32_e32 v54, 0xffff, v55
	v_or_b32_e32 v56, 0x10000, v55
	s_delay_alu instid0(VALU_DEP_2) | instskip(NEXT) | instid1(VALU_DEP_1)
	v_cmp_eq_u32_e64 s2, 0, v54
	v_cndmask_b32_e64 v54, v56, v55, s2
; %bb.98:
	s_or_b32 exec_lo, exec_lo, s3
	v_lshlrev_b32_e32 v55, 16, v49
	s_delay_alu instid0(VALU_DEP_1) | instskip(NEXT) | instid1(VALU_DEP_1)
	v_mul_f32_e32 v56, v73, v55
	v_and_b32_e32 v55, 0x7f800000, v56
	s_delay_alu instid0(VALU_DEP_1) | instskip(NEXT) | instid1(VALU_DEP_1)
	v_cmp_ne_u32_e64 s2, 0x7f800000, v55
                                        ; implicit-def: $vgpr55
	s_and_saveexec_b32 s3, s2
	s_delay_alu instid0(SALU_CYCLE_1)
	s_xor_b32 s2, exec_lo, s3
; %bb.99:
	v_bfe_u32 v55, v56, 16, 1
	s_delay_alu instid0(VALU_DEP_1)
	v_add3_u32 v55, v56, v55, 0x7fff
                                        ; implicit-def: $vgpr56
; %bb.100:
	s_and_not1_saveexec_b32 s3, s2
; %bb.101:
	v_and_b32_e32 v55, 0xffff, v56
	v_or_b32_e32 v59, 0x10000, v56
	s_delay_alu instid0(VALU_DEP_2) | instskip(NEXT) | instid1(VALU_DEP_1)
	v_cmp_eq_u32_e64 s2, 0, v55
	v_cndmask_b32_e64 v55, v59, v56, s2
; %bb.102:
	s_or_b32 exec_lo, exec_lo, s3
	v_and_b32_e32 v49, 0xffff0000, v49
	s_delay_alu instid0(VALU_DEP_1) | instskip(NEXT) | instid1(VALU_DEP_1)
	v_mul_f32_e32 v56, v72, v49
	v_and_b32_e32 v49, 0x7f800000, v56
	s_delay_alu instid0(VALU_DEP_1) | instskip(NEXT) | instid1(VALU_DEP_1)
	v_cmp_ne_u32_e64 s2, 0x7f800000, v49
                                        ; implicit-def: $vgpr49
	s_and_saveexec_b32 s3, s2
	s_delay_alu instid0(SALU_CYCLE_1)
	s_xor_b32 s2, exec_lo, s3
; %bb.103:
	v_bfe_u32 v49, v56, 16, 1
	s_delay_alu instid0(VALU_DEP_1)
	v_add3_u32 v49, v56, v49, 0x7fff
                                        ; implicit-def: $vgpr56
; %bb.104:
	s_and_not1_saveexec_b32 s3, s2
; %bb.105:
	v_and_b32_e32 v49, 0xffff, v56
	v_or_b32_e32 v59, 0x10000, v56
	s_delay_alu instid0(VALU_DEP_2) | instskip(NEXT) | instid1(VALU_DEP_1)
	v_cmp_eq_u32_e64 s2, 0, v49
	v_cndmask_b32_e64 v49, v59, v56, s2
; %bb.106:
	s_or_b32 exec_lo, exec_lo, s3
	v_and_b32_e32 v56, 0xffff0000, v55
	v_lshlrev_b32_e32 v55, 16, v50
	s_delay_alu instid0(VALU_DEP_1) | instskip(NEXT) | instid1(VALU_DEP_1)
	v_fmac_f32_e32 v56, v55, v71
	v_and_b32_e32 v55, 0x7f800000, v56
	s_delay_alu instid0(VALU_DEP_1) | instskip(NEXT) | instid1(VALU_DEP_1)
	v_cmp_ne_u32_e64 s2, 0x7f800000, v55
                                        ; implicit-def: $vgpr55
	s_and_saveexec_b32 s3, s2
	s_delay_alu instid0(SALU_CYCLE_1)
	s_xor_b32 s2, exec_lo, s3
; %bb.107:
	v_bfe_u32 v55, v56, 16, 1
	s_delay_alu instid0(VALU_DEP_1)
	v_add3_u32 v55, v56, v55, 0x7fff
                                        ; implicit-def: $vgpr56
; %bb.108:
	s_and_not1_saveexec_b32 s3, s2
; %bb.109:
	v_and_b32_e32 v55, 0xffff, v56
	v_or_b32_e32 v59, 0x10000, v56
	s_delay_alu instid0(VALU_DEP_2) | instskip(NEXT) | instid1(VALU_DEP_1)
	v_cmp_eq_u32_e64 s2, 0, v55
	v_cndmask_b32_e64 v55, v59, v56, s2
; %bb.110:
	s_or_b32 exec_lo, exec_lo, s3
	v_and_b32_e32 v56, 0xffff0000, v49
	v_and_b32_e32 v49, 0xffff0000, v50
	s_delay_alu instid0(VALU_DEP_1) | instskip(NEXT) | instid1(VALU_DEP_1)
	v_fmac_f32_e32 v56, v49, v70
	v_and_b32_e32 v49, 0x7f800000, v56
	s_delay_alu instid0(VALU_DEP_1) | instskip(NEXT) | instid1(VALU_DEP_1)
	v_cmp_ne_u32_e64 s2, 0x7f800000, v49
                                        ; implicit-def: $vgpr49
	s_and_saveexec_b32 s3, s2
	s_delay_alu instid0(SALU_CYCLE_1)
	s_xor_b32 s2, exec_lo, s3
; %bb.111:
	v_bfe_u32 v49, v56, 16, 1
	s_delay_alu instid0(VALU_DEP_1)
	v_add3_u32 v49, v56, v49, 0x7fff
                                        ; implicit-def: $vgpr56
; %bb.112:
	s_and_not1_saveexec_b32 s3, s2
; %bb.113:
	v_and_b32_e32 v49, 0xffff, v56
	v_or_b32_e32 v50, 0x10000, v56
	s_delay_alu instid0(VALU_DEP_2) | instskip(NEXT) | instid1(VALU_DEP_1)
	v_cmp_eq_u32_e64 s2, 0, v49
	v_cndmask_b32_e64 v49, v50, v56, s2
; %bb.114:
	s_or_b32 exec_lo, exec_lo, s3
	v_and_b32_e32 v55, 0xffff0000, v55
	v_lshlrev_b32_e32 v50, 16, v51
	s_delay_alu instid0(VALU_DEP_1) | instskip(NEXT) | instid1(VALU_DEP_1)
	v_fmac_f32_e32 v55, v50, v69
	v_and_b32_e32 v50, 0x7f800000, v55
	s_delay_alu instid0(VALU_DEP_1) | instskip(NEXT) | instid1(VALU_DEP_1)
	v_cmp_ne_u32_e64 s2, 0x7f800000, v50
                                        ; implicit-def: $vgpr50
	s_and_saveexec_b32 s3, s2
	s_delay_alu instid0(SALU_CYCLE_1)
	s_xor_b32 s2, exec_lo, s3
; %bb.115:
	v_bfe_u32 v50, v55, 16, 1
	s_delay_alu instid0(VALU_DEP_1)
	v_add3_u32 v50, v55, v50, 0x7fff
                                        ; implicit-def: $vgpr55
; %bb.116:
	s_and_not1_saveexec_b32 s3, s2
; %bb.117:
	v_and_b32_e32 v50, 0xffff, v55
	v_or_b32_e32 v56, 0x10000, v55
	s_delay_alu instid0(VALU_DEP_2) | instskip(NEXT) | instid1(VALU_DEP_1)
	v_cmp_eq_u32_e64 s2, 0, v50
	v_cndmask_b32_e64 v50, v56, v55, s2
; %bb.118:
	s_or_b32 exec_lo, exec_lo, s3
	v_and_b32_e32 v49, 0xffff0000, v49
	v_and_b32_e32 v51, 0xffff0000, v51
	s_delay_alu instid0(VALU_DEP_1) | instskip(NEXT) | instid1(VALU_DEP_1)
	v_fmac_f32_e32 v49, v51, v68
	v_and_b32_e32 v51, 0x7f800000, v49
	s_delay_alu instid0(VALU_DEP_1) | instskip(NEXT) | instid1(VALU_DEP_1)
	v_cmp_ne_u32_e64 s2, 0x7f800000, v51
                                        ; implicit-def: $vgpr51
	s_and_saveexec_b32 s3, s2
	s_delay_alu instid0(SALU_CYCLE_1)
	s_xor_b32 s2, exec_lo, s3
; %bb.119:
	v_bfe_u32 v51, v49, 16, 1
	s_delay_alu instid0(VALU_DEP_1)
	v_add3_u32 v51, v49, v51, 0x7fff
                                        ; implicit-def: $vgpr49
; %bb.120:
	s_and_not1_saveexec_b32 s3, s2
; %bb.121:
	v_and_b32_e32 v51, 0xffff, v49
	v_or_b32_e32 v55, 0x10000, v49
	s_delay_alu instid0(VALU_DEP_2) | instskip(NEXT) | instid1(VALU_DEP_1)
	v_cmp_eq_u32_e64 s2, 0, v51
	v_cndmask_b32_e64 v51, v55, v49, s2
; %bb.122:
	s_or_b32 exec_lo, exec_lo, s3
	v_and_b32_e32 v50, 0xffff0000, v50
	v_lshlrev_b32_e32 v49, 16, v52
	s_delay_alu instid0(VALU_DEP_1) | instskip(NEXT) | instid1(VALU_DEP_1)
	v_fmac_f32_e32 v50, v49, v66
	v_and_b32_e32 v49, 0x7f800000, v50
	s_delay_alu instid0(VALU_DEP_1) | instskip(NEXT) | instid1(VALU_DEP_1)
	v_cmp_ne_u32_e64 s2, 0x7f800000, v49
                                        ; implicit-def: $vgpr49
	s_and_saveexec_b32 s3, s2
	s_delay_alu instid0(SALU_CYCLE_1)
	s_xor_b32 s2, exec_lo, s3
; %bb.123:
	v_bfe_u32 v49, v50, 16, 1
	s_delay_alu instid0(VALU_DEP_1)
	v_add3_u32 v49, v50, v49, 0x7fff
                                        ; implicit-def: $vgpr50
; %bb.124:
	s_and_not1_saveexec_b32 s3, s2
; %bb.125:
	v_and_b32_e32 v49, 0xffff, v50
	v_or_b32_e32 v55, 0x10000, v50
	s_delay_alu instid0(VALU_DEP_2) | instskip(NEXT) | instid1(VALU_DEP_1)
	v_cmp_eq_u32_e64 s2, 0, v49
	v_cndmask_b32_e64 v49, v55, v50, s2
; %bb.126:
	s_or_b32 exec_lo, exec_lo, s3
	v_and_b32_e32 v51, 0xffff0000, v51
	v_and_b32_e32 v50, 0xffff0000, v52
	s_delay_alu instid0(VALU_DEP_1) | instskip(NEXT) | instid1(VALU_DEP_1)
	v_fmac_f32_e32 v51, v50, v67
	v_and_b32_e32 v50, 0x7f800000, v51
	s_delay_alu instid0(VALU_DEP_1) | instskip(NEXT) | instid1(VALU_DEP_1)
	v_cmp_ne_u32_e64 s2, 0x7f800000, v50
                                        ; implicit-def: $vgpr50
	s_and_saveexec_b32 s3, s2
	s_delay_alu instid0(SALU_CYCLE_1)
	s_xor_b32 s2, exec_lo, s3
; %bb.127:
	v_bfe_u32 v50, v51, 16, 1
	s_delay_alu instid0(VALU_DEP_1)
	v_add3_u32 v50, v51, v50, 0x7fff
                                        ; implicit-def: $vgpr51
; %bb.128:
	s_and_not1_saveexec_b32 s3, s2
; %bb.129:
	v_and_b32_e32 v50, 0xffff, v51
	v_or_b32_e32 v52, 0x10000, v51
	s_delay_alu instid0(VALU_DEP_2) | instskip(NEXT) | instid1(VALU_DEP_1)
	v_cmp_eq_u32_e64 s2, 0, v50
	v_cndmask_b32_e64 v50, v52, v51, s2
; %bb.130:
	s_or_b32 exec_lo, exec_lo, s3
	v_lshlrev_b32_e32 v51, 16, v45
	s_delay_alu instid0(VALU_DEP_1) | instskip(NEXT) | instid1(VALU_DEP_1)
	v_mul_f32_e32 v52, v73, v51
	v_and_b32_e32 v51, 0x7f800000, v52
	s_delay_alu instid0(VALU_DEP_1) | instskip(NEXT) | instid1(VALU_DEP_1)
	v_cmp_ne_u32_e64 s2, 0x7f800000, v51
                                        ; implicit-def: $vgpr51
	s_and_saveexec_b32 s3, s2
	s_delay_alu instid0(SALU_CYCLE_1)
	s_xor_b32 s2, exec_lo, s3
; %bb.131:
	v_bfe_u32 v51, v52, 16, 1
	s_delay_alu instid0(VALU_DEP_1)
	v_add3_u32 v51, v52, v51, 0x7fff
                                        ; implicit-def: $vgpr52
; %bb.132:
	s_and_not1_saveexec_b32 s3, s2
; %bb.133:
	v_and_b32_e32 v51, 0xffff, v52
	v_or_b32_e32 v55, 0x10000, v52
	s_delay_alu instid0(VALU_DEP_2) | instskip(NEXT) | instid1(VALU_DEP_1)
	v_cmp_eq_u32_e64 s2, 0, v51
	v_cndmask_b32_e64 v51, v55, v52, s2
; %bb.134:
	s_or_b32 exec_lo, exec_lo, s3
	v_and_b32_e32 v45, 0xffff0000, v45
	s_delay_alu instid0(VALU_DEP_1) | instskip(NEXT) | instid1(VALU_DEP_1)
	v_mul_f32_e32 v52, v72, v45
	v_and_b32_e32 v45, 0x7f800000, v52
	s_delay_alu instid0(VALU_DEP_1) | instskip(NEXT) | instid1(VALU_DEP_1)
	v_cmp_ne_u32_e64 s2, 0x7f800000, v45
                                        ; implicit-def: $vgpr45
	s_and_saveexec_b32 s3, s2
	s_delay_alu instid0(SALU_CYCLE_1)
	s_xor_b32 s2, exec_lo, s3
; %bb.135:
	v_bfe_u32 v45, v52, 16, 1
	s_delay_alu instid0(VALU_DEP_1)
	v_add3_u32 v45, v52, v45, 0x7fff
                                        ; implicit-def: $vgpr52
; %bb.136:
	s_and_not1_saveexec_b32 s3, s2
; %bb.137:
	v_and_b32_e32 v45, 0xffff, v52
	v_or_b32_e32 v55, 0x10000, v52
	s_delay_alu instid0(VALU_DEP_2) | instskip(NEXT) | instid1(VALU_DEP_1)
	v_cmp_eq_u32_e64 s2, 0, v45
	v_cndmask_b32_e64 v45, v55, v52, s2
; %bb.138:
	s_or_b32 exec_lo, exec_lo, s3
	v_and_b32_e32 v52, 0xffff0000, v51
	v_lshlrev_b32_e32 v51, 16, v46
	s_delay_alu instid0(VALU_DEP_1) | instskip(NEXT) | instid1(VALU_DEP_1)
	v_fmac_f32_e32 v52, v51, v71
	v_and_b32_e32 v51, 0x7f800000, v52
	s_delay_alu instid0(VALU_DEP_1) | instskip(NEXT) | instid1(VALU_DEP_1)
	v_cmp_ne_u32_e64 s2, 0x7f800000, v51
                                        ; implicit-def: $vgpr51
	s_and_saveexec_b32 s3, s2
	s_delay_alu instid0(SALU_CYCLE_1)
	s_xor_b32 s2, exec_lo, s3
; %bb.139:
	v_bfe_u32 v51, v52, 16, 1
	s_delay_alu instid0(VALU_DEP_1)
	v_add3_u32 v51, v52, v51, 0x7fff
                                        ; implicit-def: $vgpr52
; %bb.140:
	s_and_not1_saveexec_b32 s3, s2
; %bb.141:
	v_and_b32_e32 v51, 0xffff, v52
	v_or_b32_e32 v55, 0x10000, v52
	s_delay_alu instid0(VALU_DEP_2) | instskip(NEXT) | instid1(VALU_DEP_1)
	v_cmp_eq_u32_e64 s2, 0, v51
	v_cndmask_b32_e64 v51, v55, v52, s2
; %bb.142:
	s_or_b32 exec_lo, exec_lo, s3
	v_and_b32_e32 v52, 0xffff0000, v45
	v_and_b32_e32 v45, 0xffff0000, v46
	s_delay_alu instid0(VALU_DEP_1) | instskip(NEXT) | instid1(VALU_DEP_1)
	v_fmac_f32_e32 v52, v45, v70
	v_and_b32_e32 v45, 0x7f800000, v52
	s_delay_alu instid0(VALU_DEP_1) | instskip(NEXT) | instid1(VALU_DEP_1)
	v_cmp_ne_u32_e64 s2, 0x7f800000, v45
                                        ; implicit-def: $vgpr45
	s_and_saveexec_b32 s3, s2
	s_delay_alu instid0(SALU_CYCLE_1)
	s_xor_b32 s2, exec_lo, s3
; %bb.143:
	v_bfe_u32 v45, v52, 16, 1
	s_delay_alu instid0(VALU_DEP_1)
	v_add3_u32 v45, v52, v45, 0x7fff
                                        ; implicit-def: $vgpr52
; %bb.144:
	s_and_not1_saveexec_b32 s3, s2
; %bb.145:
	v_and_b32_e32 v45, 0xffff, v52
	v_or_b32_e32 v46, 0x10000, v52
	s_delay_alu instid0(VALU_DEP_2) | instskip(NEXT) | instid1(VALU_DEP_1)
	v_cmp_eq_u32_e64 s2, 0, v45
	v_cndmask_b32_e64 v45, v46, v52, s2
; %bb.146:
	s_or_b32 exec_lo, exec_lo, s3
	v_and_b32_e32 v51, 0xffff0000, v51
	v_lshlrev_b32_e32 v46, 16, v47
	s_delay_alu instid0(VALU_DEP_1) | instskip(NEXT) | instid1(VALU_DEP_1)
	v_fmac_f32_e32 v51, v46, v69
	v_and_b32_e32 v46, 0x7f800000, v51
	s_delay_alu instid0(VALU_DEP_1) | instskip(NEXT) | instid1(VALU_DEP_1)
	v_cmp_ne_u32_e64 s2, 0x7f800000, v46
                                        ; implicit-def: $vgpr46
	s_and_saveexec_b32 s3, s2
	s_delay_alu instid0(SALU_CYCLE_1)
	s_xor_b32 s2, exec_lo, s3
; %bb.147:
	v_bfe_u32 v46, v51, 16, 1
	s_delay_alu instid0(VALU_DEP_1)
	v_add3_u32 v46, v51, v46, 0x7fff
                                        ; implicit-def: $vgpr51
; %bb.148:
	s_and_not1_saveexec_b32 s3, s2
; %bb.149:
	v_and_b32_e32 v46, 0xffff, v51
	v_or_b32_e32 v52, 0x10000, v51
	s_delay_alu instid0(VALU_DEP_2) | instskip(NEXT) | instid1(VALU_DEP_1)
	v_cmp_eq_u32_e64 s2, 0, v46
	v_cndmask_b32_e64 v46, v52, v51, s2
; %bb.150:
	s_or_b32 exec_lo, exec_lo, s3
	v_and_b32_e32 v45, 0xffff0000, v45
	v_and_b32_e32 v47, 0xffff0000, v47
	s_delay_alu instid0(VALU_DEP_1) | instskip(NEXT) | instid1(VALU_DEP_1)
	v_fmac_f32_e32 v45, v47, v68
	v_and_b32_e32 v47, 0x7f800000, v45
	s_delay_alu instid0(VALU_DEP_1) | instskip(NEXT) | instid1(VALU_DEP_1)
	v_cmp_ne_u32_e64 s2, 0x7f800000, v47
                                        ; implicit-def: $vgpr47
	s_and_saveexec_b32 s3, s2
	s_delay_alu instid0(SALU_CYCLE_1)
	s_xor_b32 s2, exec_lo, s3
; %bb.151:
	v_bfe_u32 v47, v45, 16, 1
	s_delay_alu instid0(VALU_DEP_1)
	v_add3_u32 v47, v45, v47, 0x7fff
                                        ; implicit-def: $vgpr45
; %bb.152:
	s_and_not1_saveexec_b32 s3, s2
; %bb.153:
	v_and_b32_e32 v47, 0xffff, v45
	v_or_b32_e32 v51, 0x10000, v45
	s_delay_alu instid0(VALU_DEP_2) | instskip(NEXT) | instid1(VALU_DEP_1)
	v_cmp_eq_u32_e64 s2, 0, v47
	v_cndmask_b32_e64 v47, v51, v45, s2
; %bb.154:
	s_or_b32 exec_lo, exec_lo, s3
	v_and_b32_e32 v46, 0xffff0000, v46
	v_lshlrev_b32_e32 v45, 16, v48
	s_delay_alu instid0(VALU_DEP_1) | instskip(NEXT) | instid1(VALU_DEP_1)
	v_fmac_f32_e32 v46, v45, v66
	v_and_b32_e32 v45, 0x7f800000, v46
	s_delay_alu instid0(VALU_DEP_1) | instskip(NEXT) | instid1(VALU_DEP_1)
	v_cmp_ne_u32_e64 s2, 0x7f800000, v45
                                        ; implicit-def: $vgpr45
	s_and_saveexec_b32 s3, s2
	s_delay_alu instid0(SALU_CYCLE_1)
	s_xor_b32 s2, exec_lo, s3
; %bb.155:
	v_bfe_u32 v45, v46, 16, 1
	s_delay_alu instid0(VALU_DEP_1)
	v_add3_u32 v45, v46, v45, 0x7fff
                                        ; implicit-def: $vgpr46
; %bb.156:
	s_and_not1_saveexec_b32 s3, s2
; %bb.157:
	v_and_b32_e32 v45, 0xffff, v46
	v_or_b32_e32 v51, 0x10000, v46
	s_delay_alu instid0(VALU_DEP_2) | instskip(NEXT) | instid1(VALU_DEP_1)
	v_cmp_eq_u32_e64 s2, 0, v45
	v_cndmask_b32_e64 v45, v51, v46, s2
; %bb.158:
	s_or_b32 exec_lo, exec_lo, s3
	v_and_b32_e32 v47, 0xffff0000, v47
	v_and_b32_e32 v46, 0xffff0000, v48
	s_delay_alu instid0(VALU_DEP_1) | instskip(NEXT) | instid1(VALU_DEP_1)
	v_fmac_f32_e32 v47, v46, v67
	v_and_b32_e32 v46, 0x7f800000, v47
	s_delay_alu instid0(VALU_DEP_1) | instskip(NEXT) | instid1(VALU_DEP_1)
	v_cmp_ne_u32_e64 s2, 0x7f800000, v46
                                        ; implicit-def: $vgpr46
	s_and_saveexec_b32 s3, s2
	s_delay_alu instid0(SALU_CYCLE_1)
	s_xor_b32 s2, exec_lo, s3
; %bb.159:
	v_bfe_u32 v46, v47, 16, 1
	s_delay_alu instid0(VALU_DEP_1)
	v_add3_u32 v46, v47, v46, 0x7fff
                                        ; implicit-def: $vgpr47
; %bb.160:
	s_and_not1_saveexec_b32 s3, s2
; %bb.161:
	v_and_b32_e32 v46, 0xffff, v47
	v_or_b32_e32 v48, 0x10000, v47
	s_delay_alu instid0(VALU_DEP_2) | instskip(NEXT) | instid1(VALU_DEP_1)
	v_cmp_eq_u32_e64 s2, 0, v46
	v_cndmask_b32_e64 v46, v48, v47, s2
; %bb.162:
	s_or_b32 exec_lo, exec_lo, s3
	v_lshlrev_b32_e32 v47, 16, v41
	s_delay_alu instid0(VALU_DEP_1) | instskip(NEXT) | instid1(VALU_DEP_1)
	v_mul_f32_e32 v48, v73, v47
	v_and_b32_e32 v47, 0x7f800000, v48
	s_delay_alu instid0(VALU_DEP_1) | instskip(NEXT) | instid1(VALU_DEP_1)
	v_cmp_ne_u32_e64 s2, 0x7f800000, v47
                                        ; implicit-def: $vgpr47
	s_and_saveexec_b32 s3, s2
	s_delay_alu instid0(SALU_CYCLE_1)
	s_xor_b32 s2, exec_lo, s3
; %bb.163:
	v_bfe_u32 v47, v48, 16, 1
	s_delay_alu instid0(VALU_DEP_1)
	v_add3_u32 v47, v48, v47, 0x7fff
                                        ; implicit-def: $vgpr48
; %bb.164:
	s_and_not1_saveexec_b32 s3, s2
; %bb.165:
	v_and_b32_e32 v47, 0xffff, v48
	v_or_b32_e32 v51, 0x10000, v48
	s_delay_alu instid0(VALU_DEP_2) | instskip(NEXT) | instid1(VALU_DEP_1)
	v_cmp_eq_u32_e64 s2, 0, v47
	v_cndmask_b32_e64 v47, v51, v48, s2
; %bb.166:
	s_or_b32 exec_lo, exec_lo, s3
	v_and_b32_e32 v41, 0xffff0000, v41
	s_delay_alu instid0(VALU_DEP_1) | instskip(NEXT) | instid1(VALU_DEP_1)
	v_mul_f32_e32 v48, v72, v41
	v_and_b32_e32 v41, 0x7f800000, v48
	s_delay_alu instid0(VALU_DEP_1) | instskip(NEXT) | instid1(VALU_DEP_1)
	v_cmp_ne_u32_e64 s2, 0x7f800000, v41
                                        ; implicit-def: $vgpr41
	s_and_saveexec_b32 s3, s2
	s_delay_alu instid0(SALU_CYCLE_1)
	s_xor_b32 s2, exec_lo, s3
; %bb.167:
	v_bfe_u32 v41, v48, 16, 1
	s_delay_alu instid0(VALU_DEP_1)
	v_add3_u32 v41, v48, v41, 0x7fff
                                        ; implicit-def: $vgpr48
; %bb.168:
	s_and_not1_saveexec_b32 s3, s2
; %bb.169:
	v_and_b32_e32 v41, 0xffff, v48
	v_or_b32_e32 v51, 0x10000, v48
	s_delay_alu instid0(VALU_DEP_2) | instskip(NEXT) | instid1(VALU_DEP_1)
	v_cmp_eq_u32_e64 s2, 0, v41
	v_cndmask_b32_e64 v41, v51, v48, s2
; %bb.170:
	s_or_b32 exec_lo, exec_lo, s3
	v_and_b32_e32 v48, 0xffff0000, v47
	v_lshlrev_b32_e32 v47, 16, v42
	s_delay_alu instid0(VALU_DEP_1) | instskip(NEXT) | instid1(VALU_DEP_1)
	v_fmac_f32_e32 v48, v47, v71
	v_and_b32_e32 v47, 0x7f800000, v48
	s_delay_alu instid0(VALU_DEP_1) | instskip(NEXT) | instid1(VALU_DEP_1)
	v_cmp_ne_u32_e64 s2, 0x7f800000, v47
                                        ; implicit-def: $vgpr47
	s_and_saveexec_b32 s3, s2
	s_delay_alu instid0(SALU_CYCLE_1)
	s_xor_b32 s2, exec_lo, s3
; %bb.171:
	v_bfe_u32 v47, v48, 16, 1
	s_delay_alu instid0(VALU_DEP_1)
	v_add3_u32 v47, v48, v47, 0x7fff
                                        ; implicit-def: $vgpr48
; %bb.172:
	s_and_not1_saveexec_b32 s3, s2
; %bb.173:
	v_and_b32_e32 v47, 0xffff, v48
	v_or_b32_e32 v51, 0x10000, v48
	s_delay_alu instid0(VALU_DEP_2) | instskip(NEXT) | instid1(VALU_DEP_1)
	v_cmp_eq_u32_e64 s2, 0, v47
	v_cndmask_b32_e64 v47, v51, v48, s2
; %bb.174:
	s_or_b32 exec_lo, exec_lo, s3
	v_and_b32_e32 v48, 0xffff0000, v41
	v_and_b32_e32 v41, 0xffff0000, v42
	s_delay_alu instid0(VALU_DEP_1) | instskip(NEXT) | instid1(VALU_DEP_1)
	v_fmac_f32_e32 v48, v41, v70
	v_and_b32_e32 v41, 0x7f800000, v48
	s_delay_alu instid0(VALU_DEP_1) | instskip(NEXT) | instid1(VALU_DEP_1)
	v_cmp_ne_u32_e64 s2, 0x7f800000, v41
                                        ; implicit-def: $vgpr41
	s_and_saveexec_b32 s3, s2
	s_delay_alu instid0(SALU_CYCLE_1)
	s_xor_b32 s2, exec_lo, s3
; %bb.175:
	v_bfe_u32 v41, v48, 16, 1
	s_delay_alu instid0(VALU_DEP_1)
	v_add3_u32 v41, v48, v41, 0x7fff
                                        ; implicit-def: $vgpr48
; %bb.176:
	s_and_not1_saveexec_b32 s3, s2
; %bb.177:
	v_and_b32_e32 v41, 0xffff, v48
	v_or_b32_e32 v42, 0x10000, v48
	s_delay_alu instid0(VALU_DEP_2) | instskip(NEXT) | instid1(VALU_DEP_1)
	v_cmp_eq_u32_e64 s2, 0, v41
	v_cndmask_b32_e64 v41, v42, v48, s2
; %bb.178:
	s_or_b32 exec_lo, exec_lo, s3
	v_and_b32_e32 v47, 0xffff0000, v47
	v_lshlrev_b32_e32 v42, 16, v43
	s_delay_alu instid0(VALU_DEP_1) | instskip(NEXT) | instid1(VALU_DEP_1)
	v_fmac_f32_e32 v47, v42, v69
	v_and_b32_e32 v42, 0x7f800000, v47
	s_delay_alu instid0(VALU_DEP_1) | instskip(NEXT) | instid1(VALU_DEP_1)
	v_cmp_ne_u32_e64 s2, 0x7f800000, v42
                                        ; implicit-def: $vgpr42
	s_and_saveexec_b32 s3, s2
	s_delay_alu instid0(SALU_CYCLE_1)
	s_xor_b32 s2, exec_lo, s3
; %bb.179:
	v_bfe_u32 v42, v47, 16, 1
	s_delay_alu instid0(VALU_DEP_1)
	v_add3_u32 v42, v47, v42, 0x7fff
                                        ; implicit-def: $vgpr47
; %bb.180:
	s_and_not1_saveexec_b32 s3, s2
; %bb.181:
	v_and_b32_e32 v42, 0xffff, v47
	v_or_b32_e32 v48, 0x10000, v47
	s_delay_alu instid0(VALU_DEP_2) | instskip(NEXT) | instid1(VALU_DEP_1)
	v_cmp_eq_u32_e64 s2, 0, v42
	v_cndmask_b32_e64 v42, v48, v47, s2
; %bb.182:
	s_or_b32 exec_lo, exec_lo, s3
	v_and_b32_e32 v41, 0xffff0000, v41
	v_and_b32_e32 v43, 0xffff0000, v43
	s_delay_alu instid0(VALU_DEP_1) | instskip(NEXT) | instid1(VALU_DEP_1)
	v_fmac_f32_e32 v41, v43, v68
	v_and_b32_e32 v43, 0x7f800000, v41
	s_delay_alu instid0(VALU_DEP_1) | instskip(NEXT) | instid1(VALU_DEP_1)
	v_cmp_ne_u32_e64 s2, 0x7f800000, v43
                                        ; implicit-def: $vgpr43
	s_and_saveexec_b32 s3, s2
	s_delay_alu instid0(SALU_CYCLE_1)
	s_xor_b32 s2, exec_lo, s3
; %bb.183:
	v_bfe_u32 v43, v41, 16, 1
	s_delay_alu instid0(VALU_DEP_1)
	v_add3_u32 v43, v41, v43, 0x7fff
                                        ; implicit-def: $vgpr41
; %bb.184:
	s_and_not1_saveexec_b32 s3, s2
; %bb.185:
	v_and_b32_e32 v43, 0xffff, v41
	v_or_b32_e32 v47, 0x10000, v41
	s_delay_alu instid0(VALU_DEP_2) | instskip(NEXT) | instid1(VALU_DEP_1)
	v_cmp_eq_u32_e64 s2, 0, v43
	v_cndmask_b32_e64 v43, v47, v41, s2
; %bb.186:
	s_or_b32 exec_lo, exec_lo, s3
	v_and_b32_e32 v42, 0xffff0000, v42
	v_lshlrev_b32_e32 v41, 16, v44
	s_delay_alu instid0(VALU_DEP_1) | instskip(NEXT) | instid1(VALU_DEP_1)
	v_fmac_f32_e32 v42, v41, v66
	v_and_b32_e32 v41, 0x7f800000, v42
	s_delay_alu instid0(VALU_DEP_1) | instskip(NEXT) | instid1(VALU_DEP_1)
	v_cmp_ne_u32_e64 s2, 0x7f800000, v41
                                        ; implicit-def: $vgpr41
	s_and_saveexec_b32 s3, s2
	s_delay_alu instid0(SALU_CYCLE_1)
	s_xor_b32 s2, exec_lo, s3
; %bb.187:
	v_bfe_u32 v41, v42, 16, 1
	s_delay_alu instid0(VALU_DEP_1)
	v_add3_u32 v41, v42, v41, 0x7fff
                                        ; implicit-def: $vgpr42
; %bb.188:
	s_and_not1_saveexec_b32 s3, s2
; %bb.189:
	v_and_b32_e32 v41, 0xffff, v42
	v_or_b32_e32 v47, 0x10000, v42
	s_delay_alu instid0(VALU_DEP_2) | instskip(NEXT) | instid1(VALU_DEP_1)
	v_cmp_eq_u32_e64 s2, 0, v41
	v_cndmask_b32_e64 v41, v47, v42, s2
; %bb.190:
	s_or_b32 exec_lo, exec_lo, s3
	v_and_b32_e32 v43, 0xffff0000, v43
	v_and_b32_e32 v42, 0xffff0000, v44
	s_delay_alu instid0(VALU_DEP_1) | instskip(NEXT) | instid1(VALU_DEP_1)
	v_fmac_f32_e32 v43, v42, v67
	v_and_b32_e32 v42, 0x7f800000, v43
	s_delay_alu instid0(VALU_DEP_1) | instskip(NEXT) | instid1(VALU_DEP_1)
	v_cmp_ne_u32_e64 s2, 0x7f800000, v42
                                        ; implicit-def: $vgpr42
	s_and_saveexec_b32 s3, s2
	s_delay_alu instid0(SALU_CYCLE_1)
	s_xor_b32 s2, exec_lo, s3
; %bb.191:
	v_bfe_u32 v42, v43, 16, 1
	s_delay_alu instid0(VALU_DEP_1)
	v_add3_u32 v42, v43, v42, 0x7fff
                                        ; implicit-def: $vgpr43
; %bb.192:
	s_and_not1_saveexec_b32 s3, s2
; %bb.193:
	v_and_b32_e32 v42, 0xffff, v43
	v_or_b32_e32 v44, 0x10000, v43
	s_delay_alu instid0(VALU_DEP_2) | instskip(NEXT) | instid1(VALU_DEP_1)
	v_cmp_eq_u32_e64 s2, 0, v42
	v_cndmask_b32_e64 v42, v44, v43, s2
; %bb.194:
	s_or_b32 exec_lo, exec_lo, s3
	v_lshlrev_b32_e32 v43, 16, v37
	s_delay_alu instid0(VALU_DEP_1) | instskip(NEXT) | instid1(VALU_DEP_1)
	v_mul_f32_e32 v44, v73, v43
	v_and_b32_e32 v43, 0x7f800000, v44
	s_delay_alu instid0(VALU_DEP_1) | instskip(NEXT) | instid1(VALU_DEP_1)
	v_cmp_ne_u32_e64 s2, 0x7f800000, v43
                                        ; implicit-def: $vgpr43
	s_and_saveexec_b32 s3, s2
	s_delay_alu instid0(SALU_CYCLE_1)
	s_xor_b32 s2, exec_lo, s3
; %bb.195:
	v_bfe_u32 v43, v44, 16, 1
	s_delay_alu instid0(VALU_DEP_1)
	v_add3_u32 v43, v44, v43, 0x7fff
                                        ; implicit-def: $vgpr44
; %bb.196:
	s_and_not1_saveexec_b32 s3, s2
; %bb.197:
	v_and_b32_e32 v43, 0xffff, v44
	v_or_b32_e32 v47, 0x10000, v44
	s_delay_alu instid0(VALU_DEP_2) | instskip(NEXT) | instid1(VALU_DEP_1)
	v_cmp_eq_u32_e64 s2, 0, v43
	v_cndmask_b32_e64 v43, v47, v44, s2
; %bb.198:
	s_or_b32 exec_lo, exec_lo, s3
	v_and_b32_e32 v37, 0xffff0000, v37
	s_delay_alu instid0(VALU_DEP_1) | instskip(NEXT) | instid1(VALU_DEP_1)
	v_mul_f32_e32 v44, v72, v37
	v_and_b32_e32 v37, 0x7f800000, v44
	s_delay_alu instid0(VALU_DEP_1) | instskip(NEXT) | instid1(VALU_DEP_1)
	v_cmp_ne_u32_e64 s2, 0x7f800000, v37
                                        ; implicit-def: $vgpr37
	s_and_saveexec_b32 s3, s2
	s_delay_alu instid0(SALU_CYCLE_1)
	s_xor_b32 s2, exec_lo, s3
; %bb.199:
	v_bfe_u32 v37, v44, 16, 1
	s_delay_alu instid0(VALU_DEP_1)
	v_add3_u32 v37, v44, v37, 0x7fff
                                        ; implicit-def: $vgpr44
; %bb.200:
	s_and_not1_saveexec_b32 s3, s2
; %bb.201:
	v_and_b32_e32 v37, 0xffff, v44
	v_or_b32_e32 v47, 0x10000, v44
	s_delay_alu instid0(VALU_DEP_2) | instskip(NEXT) | instid1(VALU_DEP_1)
	v_cmp_eq_u32_e64 s2, 0, v37
	v_cndmask_b32_e64 v37, v47, v44, s2
; %bb.202:
	s_or_b32 exec_lo, exec_lo, s3
	v_and_b32_e32 v44, 0xffff0000, v43
	v_lshlrev_b32_e32 v43, 16, v38
	s_delay_alu instid0(VALU_DEP_1) | instskip(NEXT) | instid1(VALU_DEP_1)
	v_fmac_f32_e32 v44, v43, v71
	v_and_b32_e32 v43, 0x7f800000, v44
	s_delay_alu instid0(VALU_DEP_1) | instskip(NEXT) | instid1(VALU_DEP_1)
	v_cmp_ne_u32_e64 s2, 0x7f800000, v43
                                        ; implicit-def: $vgpr43
	s_and_saveexec_b32 s3, s2
	s_delay_alu instid0(SALU_CYCLE_1)
	s_xor_b32 s2, exec_lo, s3
; %bb.203:
	v_bfe_u32 v43, v44, 16, 1
	s_delay_alu instid0(VALU_DEP_1)
	v_add3_u32 v43, v44, v43, 0x7fff
                                        ; implicit-def: $vgpr44
; %bb.204:
	s_and_not1_saveexec_b32 s3, s2
; %bb.205:
	v_and_b32_e32 v43, 0xffff, v44
	v_or_b32_e32 v47, 0x10000, v44
	s_delay_alu instid0(VALU_DEP_2) | instskip(NEXT) | instid1(VALU_DEP_1)
	v_cmp_eq_u32_e64 s2, 0, v43
	v_cndmask_b32_e64 v43, v47, v44, s2
; %bb.206:
	s_or_b32 exec_lo, exec_lo, s3
	v_and_b32_e32 v44, 0xffff0000, v37
	v_and_b32_e32 v37, 0xffff0000, v38
	s_delay_alu instid0(VALU_DEP_1) | instskip(NEXT) | instid1(VALU_DEP_1)
	v_fmac_f32_e32 v44, v37, v70
	v_and_b32_e32 v37, 0x7f800000, v44
	s_delay_alu instid0(VALU_DEP_1) | instskip(NEXT) | instid1(VALU_DEP_1)
	v_cmp_ne_u32_e64 s2, 0x7f800000, v37
                                        ; implicit-def: $vgpr37
	s_and_saveexec_b32 s3, s2
	s_delay_alu instid0(SALU_CYCLE_1)
	s_xor_b32 s2, exec_lo, s3
; %bb.207:
	v_bfe_u32 v37, v44, 16, 1
	s_delay_alu instid0(VALU_DEP_1)
	v_add3_u32 v37, v44, v37, 0x7fff
                                        ; implicit-def: $vgpr44
; %bb.208:
	s_and_not1_saveexec_b32 s3, s2
; %bb.209:
	v_and_b32_e32 v37, 0xffff, v44
	v_or_b32_e32 v38, 0x10000, v44
	s_delay_alu instid0(VALU_DEP_2) | instskip(NEXT) | instid1(VALU_DEP_1)
	v_cmp_eq_u32_e64 s2, 0, v37
	v_cndmask_b32_e64 v37, v38, v44, s2
; %bb.210:
	s_or_b32 exec_lo, exec_lo, s3
	v_and_b32_e32 v43, 0xffff0000, v43
	v_lshlrev_b32_e32 v38, 16, v39
	s_delay_alu instid0(VALU_DEP_1) | instskip(NEXT) | instid1(VALU_DEP_1)
	v_fmac_f32_e32 v43, v38, v69
	v_and_b32_e32 v38, 0x7f800000, v43
	s_delay_alu instid0(VALU_DEP_1) | instskip(NEXT) | instid1(VALU_DEP_1)
	v_cmp_ne_u32_e64 s2, 0x7f800000, v38
                                        ; implicit-def: $vgpr38
	s_and_saveexec_b32 s3, s2
	s_delay_alu instid0(SALU_CYCLE_1)
	s_xor_b32 s2, exec_lo, s3
; %bb.211:
	v_bfe_u32 v38, v43, 16, 1
	s_delay_alu instid0(VALU_DEP_1)
	v_add3_u32 v38, v43, v38, 0x7fff
                                        ; implicit-def: $vgpr43
; %bb.212:
	s_and_not1_saveexec_b32 s3, s2
; %bb.213:
	v_and_b32_e32 v38, 0xffff, v43
	v_or_b32_e32 v44, 0x10000, v43
	s_delay_alu instid0(VALU_DEP_2) | instskip(NEXT) | instid1(VALU_DEP_1)
	v_cmp_eq_u32_e64 s2, 0, v38
	v_cndmask_b32_e64 v38, v44, v43, s2
; %bb.214:
	s_or_b32 exec_lo, exec_lo, s3
	v_and_b32_e32 v37, 0xffff0000, v37
	v_and_b32_e32 v39, 0xffff0000, v39
	s_delay_alu instid0(VALU_DEP_1) | instskip(NEXT) | instid1(VALU_DEP_1)
	v_fmac_f32_e32 v37, v39, v68
	v_and_b32_e32 v39, 0x7f800000, v37
	s_delay_alu instid0(VALU_DEP_1) | instskip(NEXT) | instid1(VALU_DEP_1)
	v_cmp_ne_u32_e64 s2, 0x7f800000, v39
                                        ; implicit-def: $vgpr39
	s_and_saveexec_b32 s3, s2
	s_delay_alu instid0(SALU_CYCLE_1)
	s_xor_b32 s2, exec_lo, s3
; %bb.215:
	v_bfe_u32 v39, v37, 16, 1
	s_delay_alu instid0(VALU_DEP_1)
	v_add3_u32 v39, v37, v39, 0x7fff
                                        ; implicit-def: $vgpr37
; %bb.216:
	s_and_not1_saveexec_b32 s3, s2
; %bb.217:
	v_and_b32_e32 v39, 0xffff, v37
	v_or_b32_e32 v43, 0x10000, v37
	s_delay_alu instid0(VALU_DEP_2) | instskip(NEXT) | instid1(VALU_DEP_1)
	v_cmp_eq_u32_e64 s2, 0, v39
	v_cndmask_b32_e64 v39, v43, v37, s2
; %bb.218:
	s_or_b32 exec_lo, exec_lo, s3
	v_and_b32_e32 v38, 0xffff0000, v38
	v_lshlrev_b32_e32 v37, 16, v40
	s_delay_alu instid0(VALU_DEP_1) | instskip(NEXT) | instid1(VALU_DEP_1)
	v_fmac_f32_e32 v38, v37, v66
	v_and_b32_e32 v37, 0x7f800000, v38
	s_delay_alu instid0(VALU_DEP_1) | instskip(NEXT) | instid1(VALU_DEP_1)
	v_cmp_ne_u32_e64 s2, 0x7f800000, v37
                                        ; implicit-def: $vgpr37
	s_and_saveexec_b32 s3, s2
	s_delay_alu instid0(SALU_CYCLE_1)
	s_xor_b32 s2, exec_lo, s3
; %bb.219:
	v_bfe_u32 v37, v38, 16, 1
	s_delay_alu instid0(VALU_DEP_1)
	v_add3_u32 v37, v38, v37, 0x7fff
                                        ; implicit-def: $vgpr38
; %bb.220:
	s_and_not1_saveexec_b32 s3, s2
; %bb.221:
	v_and_b32_e32 v37, 0xffff, v38
	v_or_b32_e32 v43, 0x10000, v38
	s_delay_alu instid0(VALU_DEP_2) | instskip(NEXT) | instid1(VALU_DEP_1)
	v_cmp_eq_u32_e64 s2, 0, v37
	v_cndmask_b32_e64 v37, v43, v38, s2
; %bb.222:
	s_or_b32 exec_lo, exec_lo, s3
	v_and_b32_e32 v39, 0xffff0000, v39
	v_and_b32_e32 v38, 0xffff0000, v40
	s_delay_alu instid0(VALU_DEP_1) | instskip(NEXT) | instid1(VALU_DEP_1)
	v_fmac_f32_e32 v39, v38, v67
	v_and_b32_e32 v38, 0x7f800000, v39
	s_delay_alu instid0(VALU_DEP_1) | instskip(NEXT) | instid1(VALU_DEP_1)
	v_cmp_ne_u32_e64 s2, 0x7f800000, v38
                                        ; implicit-def: $vgpr38
	s_and_saveexec_b32 s3, s2
	s_delay_alu instid0(SALU_CYCLE_1)
	s_xor_b32 s2, exec_lo, s3
; %bb.223:
	v_bfe_u32 v38, v39, 16, 1
	s_delay_alu instid0(VALU_DEP_1)
	v_add3_u32 v38, v39, v38, 0x7fff
                                        ; implicit-def: $vgpr39
; %bb.224:
	s_and_not1_saveexec_b32 s3, s2
; %bb.225:
	v_and_b32_e32 v38, 0xffff, v39
	v_or_b32_e32 v40, 0x10000, v39
	s_delay_alu instid0(VALU_DEP_2) | instskip(NEXT) | instid1(VALU_DEP_1)
	v_cmp_eq_u32_e64 s2, 0, v38
	v_cndmask_b32_e64 v38, v40, v39, s2
; %bb.226:
	s_or_b32 exec_lo, exec_lo, s3
	v_lshlrev_b32_e32 v39, 16, v33
	s_delay_alu instid0(VALU_DEP_1) | instskip(NEXT) | instid1(VALU_DEP_1)
	v_mul_f32_e32 v40, v73, v39
	v_and_b32_e32 v39, 0x7f800000, v40
	s_delay_alu instid0(VALU_DEP_1) | instskip(NEXT) | instid1(VALU_DEP_1)
	v_cmp_ne_u32_e64 s2, 0x7f800000, v39
                                        ; implicit-def: $vgpr39
	s_and_saveexec_b32 s3, s2
	s_delay_alu instid0(SALU_CYCLE_1)
	s_xor_b32 s2, exec_lo, s3
; %bb.227:
	v_bfe_u32 v39, v40, 16, 1
	s_delay_alu instid0(VALU_DEP_1)
	v_add3_u32 v39, v40, v39, 0x7fff
                                        ; implicit-def: $vgpr40
; %bb.228:
	s_and_not1_saveexec_b32 s3, s2
; %bb.229:
	v_and_b32_e32 v39, 0xffff, v40
	v_or_b32_e32 v43, 0x10000, v40
	s_delay_alu instid0(VALU_DEP_2) | instskip(NEXT) | instid1(VALU_DEP_1)
	v_cmp_eq_u32_e64 s2, 0, v39
	v_cndmask_b32_e64 v39, v43, v40, s2
; %bb.230:
	s_or_b32 exec_lo, exec_lo, s3
	v_and_b32_e32 v33, 0xffff0000, v33
	s_delay_alu instid0(VALU_DEP_1) | instskip(NEXT) | instid1(VALU_DEP_1)
	v_mul_f32_e32 v40, v72, v33
	v_and_b32_e32 v33, 0x7f800000, v40
	s_delay_alu instid0(VALU_DEP_1) | instskip(NEXT) | instid1(VALU_DEP_1)
	v_cmp_ne_u32_e64 s2, 0x7f800000, v33
                                        ; implicit-def: $vgpr33
	s_and_saveexec_b32 s3, s2
	s_delay_alu instid0(SALU_CYCLE_1)
	s_xor_b32 s2, exec_lo, s3
; %bb.231:
	v_bfe_u32 v33, v40, 16, 1
	s_delay_alu instid0(VALU_DEP_1)
	v_add3_u32 v33, v40, v33, 0x7fff
                                        ; implicit-def: $vgpr40
; %bb.232:
	s_and_not1_saveexec_b32 s3, s2
; %bb.233:
	v_and_b32_e32 v33, 0xffff, v40
	v_or_b32_e32 v43, 0x10000, v40
	s_delay_alu instid0(VALU_DEP_2) | instskip(NEXT) | instid1(VALU_DEP_1)
	v_cmp_eq_u32_e64 s2, 0, v33
	v_cndmask_b32_e64 v33, v43, v40, s2
; %bb.234:
	s_or_b32 exec_lo, exec_lo, s3
	v_and_b32_e32 v40, 0xffff0000, v39
	v_lshlrev_b32_e32 v39, 16, v34
	s_delay_alu instid0(VALU_DEP_1) | instskip(NEXT) | instid1(VALU_DEP_1)
	v_fmac_f32_e32 v40, v39, v71
	v_and_b32_e32 v39, 0x7f800000, v40
	s_delay_alu instid0(VALU_DEP_1) | instskip(NEXT) | instid1(VALU_DEP_1)
	v_cmp_ne_u32_e64 s2, 0x7f800000, v39
                                        ; implicit-def: $vgpr39
	s_and_saveexec_b32 s3, s2
	s_delay_alu instid0(SALU_CYCLE_1)
	s_xor_b32 s2, exec_lo, s3
; %bb.235:
	v_bfe_u32 v39, v40, 16, 1
	s_delay_alu instid0(VALU_DEP_1)
	v_add3_u32 v39, v40, v39, 0x7fff
                                        ; implicit-def: $vgpr40
; %bb.236:
	s_and_not1_saveexec_b32 s3, s2
; %bb.237:
	v_and_b32_e32 v39, 0xffff, v40
	v_or_b32_e32 v43, 0x10000, v40
	s_delay_alu instid0(VALU_DEP_2) | instskip(NEXT) | instid1(VALU_DEP_1)
	v_cmp_eq_u32_e64 s2, 0, v39
	v_cndmask_b32_e64 v39, v43, v40, s2
; %bb.238:
	s_or_b32 exec_lo, exec_lo, s3
	v_and_b32_e32 v40, 0xffff0000, v33
	v_and_b32_e32 v33, 0xffff0000, v34
	s_delay_alu instid0(VALU_DEP_1) | instskip(NEXT) | instid1(VALU_DEP_1)
	v_fmac_f32_e32 v40, v33, v70
	v_and_b32_e32 v33, 0x7f800000, v40
	s_delay_alu instid0(VALU_DEP_1) | instskip(NEXT) | instid1(VALU_DEP_1)
	v_cmp_ne_u32_e64 s2, 0x7f800000, v33
                                        ; implicit-def: $vgpr33
	s_and_saveexec_b32 s3, s2
	s_delay_alu instid0(SALU_CYCLE_1)
	s_xor_b32 s2, exec_lo, s3
; %bb.239:
	v_bfe_u32 v33, v40, 16, 1
	s_delay_alu instid0(VALU_DEP_1)
	v_add3_u32 v33, v40, v33, 0x7fff
                                        ; implicit-def: $vgpr40
; %bb.240:
	s_and_not1_saveexec_b32 s3, s2
; %bb.241:
	v_and_b32_e32 v33, 0xffff, v40
	v_or_b32_e32 v34, 0x10000, v40
	s_delay_alu instid0(VALU_DEP_2) | instskip(NEXT) | instid1(VALU_DEP_1)
	v_cmp_eq_u32_e64 s2, 0, v33
	v_cndmask_b32_e64 v33, v34, v40, s2
; %bb.242:
	s_or_b32 exec_lo, exec_lo, s3
	v_and_b32_e32 v39, 0xffff0000, v39
	v_lshlrev_b32_e32 v34, 16, v35
	s_delay_alu instid0(VALU_DEP_1) | instskip(NEXT) | instid1(VALU_DEP_1)
	v_fmac_f32_e32 v39, v34, v69
	v_and_b32_e32 v34, 0x7f800000, v39
	s_delay_alu instid0(VALU_DEP_1) | instskip(NEXT) | instid1(VALU_DEP_1)
	v_cmp_ne_u32_e64 s2, 0x7f800000, v34
                                        ; implicit-def: $vgpr34
	s_and_saveexec_b32 s3, s2
	s_delay_alu instid0(SALU_CYCLE_1)
	s_xor_b32 s2, exec_lo, s3
; %bb.243:
	v_bfe_u32 v34, v39, 16, 1
	s_delay_alu instid0(VALU_DEP_1)
	v_add3_u32 v34, v39, v34, 0x7fff
                                        ; implicit-def: $vgpr39
; %bb.244:
	s_and_not1_saveexec_b32 s3, s2
; %bb.245:
	v_and_b32_e32 v34, 0xffff, v39
	v_or_b32_e32 v40, 0x10000, v39
	s_delay_alu instid0(VALU_DEP_2) | instskip(NEXT) | instid1(VALU_DEP_1)
	v_cmp_eq_u32_e64 s2, 0, v34
	v_cndmask_b32_e64 v34, v40, v39, s2
; %bb.246:
	s_or_b32 exec_lo, exec_lo, s3
	v_and_b32_e32 v33, 0xffff0000, v33
	v_and_b32_e32 v35, 0xffff0000, v35
	s_delay_alu instid0(VALU_DEP_1) | instskip(NEXT) | instid1(VALU_DEP_1)
	v_fmac_f32_e32 v33, v35, v68
	v_and_b32_e32 v35, 0x7f800000, v33
	s_delay_alu instid0(VALU_DEP_1) | instskip(NEXT) | instid1(VALU_DEP_1)
	v_cmp_ne_u32_e64 s2, 0x7f800000, v35
                                        ; implicit-def: $vgpr35
	s_and_saveexec_b32 s3, s2
	s_delay_alu instid0(SALU_CYCLE_1)
	s_xor_b32 s2, exec_lo, s3
; %bb.247:
	v_bfe_u32 v35, v33, 16, 1
	s_delay_alu instid0(VALU_DEP_1)
	v_add3_u32 v35, v33, v35, 0x7fff
                                        ; implicit-def: $vgpr33
; %bb.248:
	s_and_not1_saveexec_b32 s3, s2
; %bb.249:
	v_and_b32_e32 v35, 0xffff, v33
	v_or_b32_e32 v39, 0x10000, v33
	s_delay_alu instid0(VALU_DEP_2) | instskip(NEXT) | instid1(VALU_DEP_1)
	v_cmp_eq_u32_e64 s2, 0, v35
	v_cndmask_b32_e64 v35, v39, v33, s2
; %bb.250:
	s_or_b32 exec_lo, exec_lo, s3
	v_and_b32_e32 v34, 0xffff0000, v34
	v_lshlrev_b32_e32 v33, 16, v36
	s_delay_alu instid0(VALU_DEP_1) | instskip(NEXT) | instid1(VALU_DEP_1)
	v_fmac_f32_e32 v34, v33, v66
	v_and_b32_e32 v33, 0x7f800000, v34
	s_delay_alu instid0(VALU_DEP_1) | instskip(NEXT) | instid1(VALU_DEP_1)
	v_cmp_ne_u32_e64 s2, 0x7f800000, v33
                                        ; implicit-def: $vgpr33
	s_and_saveexec_b32 s3, s2
	s_delay_alu instid0(SALU_CYCLE_1)
	s_xor_b32 s2, exec_lo, s3
; %bb.251:
	v_bfe_u32 v33, v34, 16, 1
	s_delay_alu instid0(VALU_DEP_1)
	v_add3_u32 v33, v34, v33, 0x7fff
                                        ; implicit-def: $vgpr34
; %bb.252:
	s_and_not1_saveexec_b32 s3, s2
; %bb.253:
	v_and_b32_e32 v33, 0xffff, v34
	v_or_b32_e32 v39, 0x10000, v34
	s_delay_alu instid0(VALU_DEP_2) | instskip(NEXT) | instid1(VALU_DEP_1)
	v_cmp_eq_u32_e64 s2, 0, v33
	v_cndmask_b32_e64 v33, v39, v34, s2
; %bb.254:
	s_or_b32 exec_lo, exec_lo, s3
	v_and_b32_e32 v35, 0xffff0000, v35
	v_and_b32_e32 v34, 0xffff0000, v36
	s_delay_alu instid0(VALU_DEP_1) | instskip(NEXT) | instid1(VALU_DEP_1)
	v_fmac_f32_e32 v35, v34, v67
	v_and_b32_e32 v34, 0x7f800000, v35
	s_delay_alu instid0(VALU_DEP_1) | instskip(NEXT) | instid1(VALU_DEP_1)
	v_cmp_ne_u32_e64 s2, 0x7f800000, v34
                                        ; implicit-def: $vgpr34
	s_and_saveexec_b32 s3, s2
	s_delay_alu instid0(SALU_CYCLE_1)
	s_xor_b32 s2, exec_lo, s3
; %bb.255:
	v_bfe_u32 v34, v35, 16, 1
	s_delay_alu instid0(VALU_DEP_1)
	v_add3_u32 v34, v35, v34, 0x7fff
                                        ; implicit-def: $vgpr35
; %bb.256:
	s_and_not1_saveexec_b32 s3, s2
; %bb.257:
	v_and_b32_e32 v34, 0xffff, v35
	v_or_b32_e32 v36, 0x10000, v35
	s_delay_alu instid0(VALU_DEP_2) | instskip(NEXT) | instid1(VALU_DEP_1)
	v_cmp_eq_u32_e64 s2, 0, v34
	v_cndmask_b32_e64 v34, v36, v35, s2
; %bb.258:
	s_or_b32 exec_lo, exec_lo, s3
	v_lshlrev_b32_e32 v35, 16, v29
	s_delay_alu instid0(VALU_DEP_1) | instskip(NEXT) | instid1(VALU_DEP_1)
	v_mul_f32_e32 v36, v73, v35
	v_and_b32_e32 v35, 0x7f800000, v36
	s_delay_alu instid0(VALU_DEP_1) | instskip(NEXT) | instid1(VALU_DEP_1)
	v_cmp_ne_u32_e64 s2, 0x7f800000, v35
                                        ; implicit-def: $vgpr35
	s_and_saveexec_b32 s3, s2
	s_delay_alu instid0(SALU_CYCLE_1)
	s_xor_b32 s2, exec_lo, s3
; %bb.259:
	v_bfe_u32 v35, v36, 16, 1
	s_delay_alu instid0(VALU_DEP_1)
	v_add3_u32 v35, v36, v35, 0x7fff
                                        ; implicit-def: $vgpr36
; %bb.260:
	s_and_not1_saveexec_b32 s3, s2
; %bb.261:
	v_and_b32_e32 v35, 0xffff, v36
	v_or_b32_e32 v39, 0x10000, v36
	s_delay_alu instid0(VALU_DEP_2) | instskip(NEXT) | instid1(VALU_DEP_1)
	v_cmp_eq_u32_e64 s2, 0, v35
	v_cndmask_b32_e64 v35, v39, v36, s2
; %bb.262:
	s_or_b32 exec_lo, exec_lo, s3
	v_and_b32_e32 v29, 0xffff0000, v29
	s_delay_alu instid0(VALU_DEP_1) | instskip(NEXT) | instid1(VALU_DEP_1)
	v_mul_f32_e32 v36, v72, v29
	v_and_b32_e32 v29, 0x7f800000, v36
	s_delay_alu instid0(VALU_DEP_1) | instskip(NEXT) | instid1(VALU_DEP_1)
	v_cmp_ne_u32_e64 s2, 0x7f800000, v29
                                        ; implicit-def: $vgpr29
	s_and_saveexec_b32 s3, s2
	s_delay_alu instid0(SALU_CYCLE_1)
	s_xor_b32 s2, exec_lo, s3
; %bb.263:
	v_bfe_u32 v29, v36, 16, 1
	s_delay_alu instid0(VALU_DEP_1)
	v_add3_u32 v29, v36, v29, 0x7fff
                                        ; implicit-def: $vgpr36
; %bb.264:
	s_and_not1_saveexec_b32 s3, s2
; %bb.265:
	v_and_b32_e32 v29, 0xffff, v36
	v_or_b32_e32 v39, 0x10000, v36
	s_delay_alu instid0(VALU_DEP_2) | instskip(NEXT) | instid1(VALU_DEP_1)
	v_cmp_eq_u32_e64 s2, 0, v29
	v_cndmask_b32_e64 v29, v39, v36, s2
; %bb.266:
	s_or_b32 exec_lo, exec_lo, s3
	v_and_b32_e32 v36, 0xffff0000, v35
	v_lshlrev_b32_e32 v35, 16, v30
	s_delay_alu instid0(VALU_DEP_1) | instskip(NEXT) | instid1(VALU_DEP_1)
	v_fmac_f32_e32 v36, v35, v71
	v_and_b32_e32 v35, 0x7f800000, v36
	s_delay_alu instid0(VALU_DEP_1) | instskip(NEXT) | instid1(VALU_DEP_1)
	v_cmp_ne_u32_e64 s2, 0x7f800000, v35
                                        ; implicit-def: $vgpr35
	s_and_saveexec_b32 s3, s2
	s_delay_alu instid0(SALU_CYCLE_1)
	s_xor_b32 s2, exec_lo, s3
; %bb.267:
	v_bfe_u32 v35, v36, 16, 1
	s_delay_alu instid0(VALU_DEP_1)
	v_add3_u32 v35, v36, v35, 0x7fff
                                        ; implicit-def: $vgpr36
; %bb.268:
	s_and_not1_saveexec_b32 s3, s2
; %bb.269:
	v_and_b32_e32 v35, 0xffff, v36
	v_or_b32_e32 v39, 0x10000, v36
	s_delay_alu instid0(VALU_DEP_2) | instskip(NEXT) | instid1(VALU_DEP_1)
	v_cmp_eq_u32_e64 s2, 0, v35
	v_cndmask_b32_e64 v35, v39, v36, s2
; %bb.270:
	s_or_b32 exec_lo, exec_lo, s3
	v_and_b32_e32 v36, 0xffff0000, v29
	v_and_b32_e32 v29, 0xffff0000, v30
	s_delay_alu instid0(VALU_DEP_1) | instskip(NEXT) | instid1(VALU_DEP_1)
	v_fmac_f32_e32 v36, v29, v70
	v_and_b32_e32 v29, 0x7f800000, v36
	s_delay_alu instid0(VALU_DEP_1) | instskip(NEXT) | instid1(VALU_DEP_1)
	v_cmp_ne_u32_e64 s2, 0x7f800000, v29
                                        ; implicit-def: $vgpr29
	s_and_saveexec_b32 s3, s2
	s_delay_alu instid0(SALU_CYCLE_1)
	s_xor_b32 s2, exec_lo, s3
; %bb.271:
	v_bfe_u32 v29, v36, 16, 1
	s_delay_alu instid0(VALU_DEP_1)
	v_add3_u32 v29, v36, v29, 0x7fff
                                        ; implicit-def: $vgpr36
; %bb.272:
	s_and_not1_saveexec_b32 s3, s2
; %bb.273:
	v_and_b32_e32 v29, 0xffff, v36
	v_or_b32_e32 v30, 0x10000, v36
	s_delay_alu instid0(VALU_DEP_2) | instskip(NEXT) | instid1(VALU_DEP_1)
	v_cmp_eq_u32_e64 s2, 0, v29
	v_cndmask_b32_e64 v29, v30, v36, s2
; %bb.274:
	s_or_b32 exec_lo, exec_lo, s3
	v_and_b32_e32 v35, 0xffff0000, v35
	v_lshlrev_b32_e32 v30, 16, v31
	s_delay_alu instid0(VALU_DEP_1) | instskip(NEXT) | instid1(VALU_DEP_1)
	v_fmac_f32_e32 v35, v30, v69
	v_and_b32_e32 v30, 0x7f800000, v35
	s_delay_alu instid0(VALU_DEP_1) | instskip(NEXT) | instid1(VALU_DEP_1)
	v_cmp_ne_u32_e64 s2, 0x7f800000, v30
                                        ; implicit-def: $vgpr30
	s_and_saveexec_b32 s3, s2
	s_delay_alu instid0(SALU_CYCLE_1)
	s_xor_b32 s2, exec_lo, s3
; %bb.275:
	v_bfe_u32 v30, v35, 16, 1
	s_delay_alu instid0(VALU_DEP_1)
	v_add3_u32 v30, v35, v30, 0x7fff
                                        ; implicit-def: $vgpr35
; %bb.276:
	s_and_not1_saveexec_b32 s3, s2
; %bb.277:
	v_and_b32_e32 v30, 0xffff, v35
	v_or_b32_e32 v36, 0x10000, v35
	s_delay_alu instid0(VALU_DEP_2) | instskip(NEXT) | instid1(VALU_DEP_1)
	v_cmp_eq_u32_e64 s2, 0, v30
	v_cndmask_b32_e64 v30, v36, v35, s2
; %bb.278:
	s_or_b32 exec_lo, exec_lo, s3
	v_and_b32_e32 v29, 0xffff0000, v29
	v_and_b32_e32 v31, 0xffff0000, v31
	s_delay_alu instid0(VALU_DEP_1) | instskip(NEXT) | instid1(VALU_DEP_1)
	v_fmac_f32_e32 v29, v31, v68
	v_and_b32_e32 v31, 0x7f800000, v29
	s_delay_alu instid0(VALU_DEP_1) | instskip(NEXT) | instid1(VALU_DEP_1)
	v_cmp_ne_u32_e64 s2, 0x7f800000, v31
                                        ; implicit-def: $vgpr31
	s_and_saveexec_b32 s3, s2
	s_delay_alu instid0(SALU_CYCLE_1)
	s_xor_b32 s2, exec_lo, s3
; %bb.279:
	v_bfe_u32 v31, v29, 16, 1
	s_delay_alu instid0(VALU_DEP_1)
	v_add3_u32 v31, v29, v31, 0x7fff
                                        ; implicit-def: $vgpr29
; %bb.280:
	s_and_not1_saveexec_b32 s3, s2
; %bb.281:
	v_and_b32_e32 v31, 0xffff, v29
	v_or_b32_e32 v35, 0x10000, v29
	s_delay_alu instid0(VALU_DEP_2) | instskip(NEXT) | instid1(VALU_DEP_1)
	v_cmp_eq_u32_e64 s2, 0, v31
	v_cndmask_b32_e64 v31, v35, v29, s2
; %bb.282:
	s_or_b32 exec_lo, exec_lo, s3
	v_and_b32_e32 v30, 0xffff0000, v30
	v_lshlrev_b32_e32 v29, 16, v32
	s_delay_alu instid0(VALU_DEP_1) | instskip(NEXT) | instid1(VALU_DEP_1)
	v_fmac_f32_e32 v30, v29, v66
	v_and_b32_e32 v29, 0x7f800000, v30
	s_delay_alu instid0(VALU_DEP_1) | instskip(NEXT) | instid1(VALU_DEP_1)
	v_cmp_ne_u32_e64 s2, 0x7f800000, v29
                                        ; implicit-def: $vgpr29
	s_and_saveexec_b32 s3, s2
	s_delay_alu instid0(SALU_CYCLE_1)
	s_xor_b32 s2, exec_lo, s3
; %bb.283:
	v_bfe_u32 v29, v30, 16, 1
	s_delay_alu instid0(VALU_DEP_1)
	v_add3_u32 v29, v30, v29, 0x7fff
                                        ; implicit-def: $vgpr30
; %bb.284:
	s_and_not1_saveexec_b32 s3, s2
; %bb.285:
	v_and_b32_e32 v29, 0xffff, v30
	v_or_b32_e32 v35, 0x10000, v30
	s_delay_alu instid0(VALU_DEP_2) | instskip(NEXT) | instid1(VALU_DEP_1)
	v_cmp_eq_u32_e64 s2, 0, v29
	v_cndmask_b32_e64 v29, v35, v30, s2
; %bb.286:
	s_or_b32 exec_lo, exec_lo, s3
	v_and_b32_e32 v31, 0xffff0000, v31
	v_and_b32_e32 v30, 0xffff0000, v32
	s_delay_alu instid0(VALU_DEP_1) | instskip(NEXT) | instid1(VALU_DEP_1)
	v_fmac_f32_e32 v31, v30, v67
	v_and_b32_e32 v30, 0x7f800000, v31
	s_delay_alu instid0(VALU_DEP_1) | instskip(NEXT) | instid1(VALU_DEP_1)
	v_cmp_ne_u32_e64 s2, 0x7f800000, v30
                                        ; implicit-def: $vgpr30
	s_and_saveexec_b32 s3, s2
	s_delay_alu instid0(SALU_CYCLE_1)
	s_xor_b32 s2, exec_lo, s3
; %bb.287:
	v_bfe_u32 v30, v31, 16, 1
	s_delay_alu instid0(VALU_DEP_1)
	v_add3_u32 v30, v31, v30, 0x7fff
                                        ; implicit-def: $vgpr31
; %bb.288:
	s_and_not1_saveexec_b32 s3, s2
; %bb.289:
	v_and_b32_e32 v30, 0xffff, v31
	v_or_b32_e32 v32, 0x10000, v31
	s_delay_alu instid0(VALU_DEP_2) | instskip(NEXT) | instid1(VALU_DEP_1)
	v_cmp_eq_u32_e64 s2, 0, v30
	v_cndmask_b32_e64 v30, v32, v31, s2
; %bb.290:
	s_or_b32 exec_lo, exec_lo, s3
	v_lshlrev_b32_e32 v31, 16, v25
	s_delay_alu instid0(VALU_DEP_1) | instskip(NEXT) | instid1(VALU_DEP_1)
	v_mul_f32_e32 v32, v73, v31
	v_and_b32_e32 v31, 0x7f800000, v32
	s_delay_alu instid0(VALU_DEP_1) | instskip(NEXT) | instid1(VALU_DEP_1)
	v_cmp_ne_u32_e64 s2, 0x7f800000, v31
                                        ; implicit-def: $vgpr31
	s_and_saveexec_b32 s3, s2
	s_delay_alu instid0(SALU_CYCLE_1)
	s_xor_b32 s2, exec_lo, s3
; %bb.291:
	v_bfe_u32 v31, v32, 16, 1
	s_delay_alu instid0(VALU_DEP_1)
	v_add3_u32 v31, v32, v31, 0x7fff
                                        ; implicit-def: $vgpr32
; %bb.292:
	s_and_not1_saveexec_b32 s3, s2
; %bb.293:
	v_and_b32_e32 v31, 0xffff, v32
	v_or_b32_e32 v35, 0x10000, v32
	s_delay_alu instid0(VALU_DEP_2) | instskip(NEXT) | instid1(VALU_DEP_1)
	v_cmp_eq_u32_e64 s2, 0, v31
	v_cndmask_b32_e64 v31, v35, v32, s2
; %bb.294:
	s_or_b32 exec_lo, exec_lo, s3
	v_and_b32_e32 v25, 0xffff0000, v25
	s_delay_alu instid0(VALU_DEP_1) | instskip(NEXT) | instid1(VALU_DEP_1)
	v_mul_f32_e32 v32, v72, v25
	v_and_b32_e32 v25, 0x7f800000, v32
	s_delay_alu instid0(VALU_DEP_1) | instskip(NEXT) | instid1(VALU_DEP_1)
	v_cmp_ne_u32_e64 s2, 0x7f800000, v25
                                        ; implicit-def: $vgpr25
	s_and_saveexec_b32 s3, s2
	s_delay_alu instid0(SALU_CYCLE_1)
	s_xor_b32 s2, exec_lo, s3
; %bb.295:
	v_bfe_u32 v25, v32, 16, 1
	s_delay_alu instid0(VALU_DEP_1)
	v_add3_u32 v25, v32, v25, 0x7fff
                                        ; implicit-def: $vgpr32
; %bb.296:
	s_and_not1_saveexec_b32 s3, s2
; %bb.297:
	v_and_b32_e32 v25, 0xffff, v32
	v_or_b32_e32 v35, 0x10000, v32
	s_delay_alu instid0(VALU_DEP_2) | instskip(NEXT) | instid1(VALU_DEP_1)
	v_cmp_eq_u32_e64 s2, 0, v25
	v_cndmask_b32_e64 v25, v35, v32, s2
; %bb.298:
	s_or_b32 exec_lo, exec_lo, s3
	v_and_b32_e32 v32, 0xffff0000, v31
	v_lshlrev_b32_e32 v31, 16, v26
	s_delay_alu instid0(VALU_DEP_1) | instskip(NEXT) | instid1(VALU_DEP_1)
	v_fmac_f32_e32 v32, v31, v71
	v_and_b32_e32 v31, 0x7f800000, v32
	s_delay_alu instid0(VALU_DEP_1) | instskip(NEXT) | instid1(VALU_DEP_1)
	v_cmp_ne_u32_e64 s2, 0x7f800000, v31
                                        ; implicit-def: $vgpr31
	s_and_saveexec_b32 s3, s2
	s_delay_alu instid0(SALU_CYCLE_1)
	s_xor_b32 s2, exec_lo, s3
; %bb.299:
	v_bfe_u32 v31, v32, 16, 1
	s_delay_alu instid0(VALU_DEP_1)
	v_add3_u32 v31, v32, v31, 0x7fff
                                        ; implicit-def: $vgpr32
; %bb.300:
	s_and_not1_saveexec_b32 s3, s2
; %bb.301:
	v_and_b32_e32 v31, 0xffff, v32
	v_or_b32_e32 v35, 0x10000, v32
	s_delay_alu instid0(VALU_DEP_2) | instskip(NEXT) | instid1(VALU_DEP_1)
	v_cmp_eq_u32_e64 s2, 0, v31
	v_cndmask_b32_e64 v31, v35, v32, s2
; %bb.302:
	s_or_b32 exec_lo, exec_lo, s3
	v_and_b32_e32 v32, 0xffff0000, v25
	v_and_b32_e32 v25, 0xffff0000, v26
	s_delay_alu instid0(VALU_DEP_1) | instskip(NEXT) | instid1(VALU_DEP_1)
	v_fmac_f32_e32 v32, v25, v70
	v_and_b32_e32 v25, 0x7f800000, v32
	s_delay_alu instid0(VALU_DEP_1) | instskip(NEXT) | instid1(VALU_DEP_1)
	v_cmp_ne_u32_e64 s2, 0x7f800000, v25
                                        ; implicit-def: $vgpr25
	s_and_saveexec_b32 s3, s2
	s_delay_alu instid0(SALU_CYCLE_1)
	s_xor_b32 s2, exec_lo, s3
; %bb.303:
	v_bfe_u32 v25, v32, 16, 1
	s_delay_alu instid0(VALU_DEP_1)
	v_add3_u32 v25, v32, v25, 0x7fff
                                        ; implicit-def: $vgpr32
; %bb.304:
	s_and_not1_saveexec_b32 s3, s2
; %bb.305:
	v_and_b32_e32 v25, 0xffff, v32
	v_or_b32_e32 v26, 0x10000, v32
	s_delay_alu instid0(VALU_DEP_2) | instskip(NEXT) | instid1(VALU_DEP_1)
	v_cmp_eq_u32_e64 s2, 0, v25
	v_cndmask_b32_e64 v25, v26, v32, s2
; %bb.306:
	s_or_b32 exec_lo, exec_lo, s3
	v_and_b32_e32 v31, 0xffff0000, v31
	v_lshlrev_b32_e32 v26, 16, v27
	s_delay_alu instid0(VALU_DEP_1) | instskip(NEXT) | instid1(VALU_DEP_1)
	v_fmac_f32_e32 v31, v26, v69
	v_and_b32_e32 v26, 0x7f800000, v31
	s_delay_alu instid0(VALU_DEP_1) | instskip(NEXT) | instid1(VALU_DEP_1)
	v_cmp_ne_u32_e64 s2, 0x7f800000, v26
                                        ; implicit-def: $vgpr26
	s_and_saveexec_b32 s3, s2
	s_delay_alu instid0(SALU_CYCLE_1)
	s_xor_b32 s2, exec_lo, s3
; %bb.307:
	v_bfe_u32 v26, v31, 16, 1
	s_delay_alu instid0(VALU_DEP_1)
	v_add3_u32 v26, v31, v26, 0x7fff
                                        ; implicit-def: $vgpr31
; %bb.308:
	s_and_not1_saveexec_b32 s3, s2
; %bb.309:
	v_and_b32_e32 v26, 0xffff, v31
	v_or_b32_e32 v32, 0x10000, v31
	s_delay_alu instid0(VALU_DEP_2) | instskip(NEXT) | instid1(VALU_DEP_1)
	v_cmp_eq_u32_e64 s2, 0, v26
	v_cndmask_b32_e64 v26, v32, v31, s2
; %bb.310:
	s_or_b32 exec_lo, exec_lo, s3
	v_and_b32_e32 v25, 0xffff0000, v25
	v_and_b32_e32 v27, 0xffff0000, v27
	s_delay_alu instid0(VALU_DEP_1) | instskip(NEXT) | instid1(VALU_DEP_1)
	v_fmac_f32_e32 v25, v27, v68
	v_and_b32_e32 v27, 0x7f800000, v25
	s_delay_alu instid0(VALU_DEP_1) | instskip(NEXT) | instid1(VALU_DEP_1)
	v_cmp_ne_u32_e64 s2, 0x7f800000, v27
                                        ; implicit-def: $vgpr27
	s_and_saveexec_b32 s3, s2
	s_delay_alu instid0(SALU_CYCLE_1)
	s_xor_b32 s2, exec_lo, s3
; %bb.311:
	v_bfe_u32 v27, v25, 16, 1
	s_delay_alu instid0(VALU_DEP_1)
	v_add3_u32 v27, v25, v27, 0x7fff
                                        ; implicit-def: $vgpr25
; %bb.312:
	s_and_not1_saveexec_b32 s3, s2
; %bb.313:
	v_and_b32_e32 v27, 0xffff, v25
	v_or_b32_e32 v31, 0x10000, v25
	s_delay_alu instid0(VALU_DEP_2) | instskip(NEXT) | instid1(VALU_DEP_1)
	v_cmp_eq_u32_e64 s2, 0, v27
	v_cndmask_b32_e64 v27, v31, v25, s2
; %bb.314:
	s_or_b32 exec_lo, exec_lo, s3
	v_and_b32_e32 v26, 0xffff0000, v26
	v_lshlrev_b32_e32 v25, 16, v28
	s_delay_alu instid0(VALU_DEP_1) | instskip(NEXT) | instid1(VALU_DEP_1)
	v_fmac_f32_e32 v26, v25, v66
	v_and_b32_e32 v25, 0x7f800000, v26
	s_delay_alu instid0(VALU_DEP_1) | instskip(NEXT) | instid1(VALU_DEP_1)
	v_cmp_ne_u32_e64 s2, 0x7f800000, v25
                                        ; implicit-def: $vgpr25
	s_and_saveexec_b32 s3, s2
	s_delay_alu instid0(SALU_CYCLE_1)
	s_xor_b32 s2, exec_lo, s3
; %bb.315:
	v_bfe_u32 v25, v26, 16, 1
	s_delay_alu instid0(VALU_DEP_1)
	v_add3_u32 v25, v26, v25, 0x7fff
                                        ; implicit-def: $vgpr26
; %bb.316:
	s_and_not1_saveexec_b32 s3, s2
; %bb.317:
	v_and_b32_e32 v25, 0xffff, v26
	v_or_b32_e32 v31, 0x10000, v26
	s_delay_alu instid0(VALU_DEP_2) | instskip(NEXT) | instid1(VALU_DEP_1)
	v_cmp_eq_u32_e64 s2, 0, v25
	v_cndmask_b32_e64 v25, v31, v26, s2
; %bb.318:
	s_or_b32 exec_lo, exec_lo, s3
	v_and_b32_e32 v27, 0xffff0000, v27
	v_and_b32_e32 v26, 0xffff0000, v28
	s_delay_alu instid0(VALU_DEP_1) | instskip(NEXT) | instid1(VALU_DEP_1)
	v_fmac_f32_e32 v27, v26, v67
	v_and_b32_e32 v26, 0x7f800000, v27
	s_delay_alu instid0(VALU_DEP_1) | instskip(NEXT) | instid1(VALU_DEP_1)
	v_cmp_ne_u32_e64 s2, 0x7f800000, v26
                                        ; implicit-def: $vgpr26
	s_and_saveexec_b32 s3, s2
	s_delay_alu instid0(SALU_CYCLE_1)
	s_xor_b32 s2, exec_lo, s3
; %bb.319:
	v_bfe_u32 v26, v27, 16, 1
	s_delay_alu instid0(VALU_DEP_1)
	v_add3_u32 v26, v27, v26, 0x7fff
                                        ; implicit-def: $vgpr27
; %bb.320:
	s_and_not1_saveexec_b32 s3, s2
; %bb.321:
	v_and_b32_e32 v26, 0xffff, v27
	v_or_b32_e32 v28, 0x10000, v27
	s_delay_alu instid0(VALU_DEP_2) | instskip(NEXT) | instid1(VALU_DEP_1)
	v_cmp_eq_u32_e64 s2, 0, v26
	v_cndmask_b32_e64 v26, v28, v27, s2
; %bb.322:
	s_or_b32 exec_lo, exec_lo, s3
	s_waitcnt vmcnt(5)
	v_lshlrev_b32_e32 v27, 16, v21
	s_delay_alu instid0(VALU_DEP_1) | instskip(NEXT) | instid1(VALU_DEP_1)
	v_mul_f32_e32 v28, v73, v27
	v_and_b32_e32 v27, 0x7f800000, v28
	s_delay_alu instid0(VALU_DEP_1) | instskip(NEXT) | instid1(VALU_DEP_1)
	v_cmp_ne_u32_e64 s2, 0x7f800000, v27
                                        ; implicit-def: $vgpr27
	s_and_saveexec_b32 s3, s2
	s_delay_alu instid0(SALU_CYCLE_1)
	s_xor_b32 s2, exec_lo, s3
; %bb.323:
	v_bfe_u32 v27, v28, 16, 1
	s_delay_alu instid0(VALU_DEP_1)
	v_add3_u32 v27, v28, v27, 0x7fff
                                        ; implicit-def: $vgpr28
; %bb.324:
	s_and_not1_saveexec_b32 s3, s2
; %bb.325:
	v_and_b32_e32 v27, 0xffff, v28
	v_or_b32_e32 v31, 0x10000, v28
	s_delay_alu instid0(VALU_DEP_2) | instskip(NEXT) | instid1(VALU_DEP_1)
	v_cmp_eq_u32_e64 s2, 0, v27
	v_cndmask_b32_e64 v27, v31, v28, s2
; %bb.326:
	s_or_b32 exec_lo, exec_lo, s3
	v_and_b32_e32 v21, 0xffff0000, v21
	s_delay_alu instid0(VALU_DEP_1) | instskip(NEXT) | instid1(VALU_DEP_1)
	v_mul_f32_e32 v28, v72, v21
	v_and_b32_e32 v21, 0x7f800000, v28
	s_delay_alu instid0(VALU_DEP_1) | instskip(NEXT) | instid1(VALU_DEP_1)
	v_cmp_ne_u32_e64 s2, 0x7f800000, v21
                                        ; implicit-def: $vgpr21
	s_and_saveexec_b32 s3, s2
	s_delay_alu instid0(SALU_CYCLE_1)
	s_xor_b32 s2, exec_lo, s3
; %bb.327:
	v_bfe_u32 v21, v28, 16, 1
	s_delay_alu instid0(VALU_DEP_1)
	v_add3_u32 v21, v28, v21, 0x7fff
                                        ; implicit-def: $vgpr28
; %bb.328:
	s_and_not1_saveexec_b32 s3, s2
; %bb.329:
	v_and_b32_e32 v21, 0xffff, v28
	v_or_b32_e32 v31, 0x10000, v28
	s_delay_alu instid0(VALU_DEP_2) | instskip(NEXT) | instid1(VALU_DEP_1)
	v_cmp_eq_u32_e64 s2, 0, v21
	v_cndmask_b32_e64 v21, v31, v28, s2
; %bb.330:
	s_or_b32 exec_lo, exec_lo, s3
	v_and_b32_e32 v28, 0xffff0000, v27
	v_lshlrev_b32_e32 v27, 16, v22
	s_delay_alu instid0(VALU_DEP_1) | instskip(NEXT) | instid1(VALU_DEP_1)
	v_fmac_f32_e32 v28, v27, v71
	v_and_b32_e32 v27, 0x7f800000, v28
	s_delay_alu instid0(VALU_DEP_1) | instskip(NEXT) | instid1(VALU_DEP_1)
	v_cmp_ne_u32_e64 s2, 0x7f800000, v27
                                        ; implicit-def: $vgpr27
	s_and_saveexec_b32 s3, s2
	s_delay_alu instid0(SALU_CYCLE_1)
	s_xor_b32 s2, exec_lo, s3
; %bb.331:
	v_bfe_u32 v27, v28, 16, 1
	s_delay_alu instid0(VALU_DEP_1)
	v_add3_u32 v27, v28, v27, 0x7fff
                                        ; implicit-def: $vgpr28
; %bb.332:
	s_and_not1_saveexec_b32 s3, s2
; %bb.333:
	v_and_b32_e32 v27, 0xffff, v28
	v_or_b32_e32 v31, 0x10000, v28
	s_delay_alu instid0(VALU_DEP_2) | instskip(NEXT) | instid1(VALU_DEP_1)
	v_cmp_eq_u32_e64 s2, 0, v27
	v_cndmask_b32_e64 v27, v31, v28, s2
; %bb.334:
	s_or_b32 exec_lo, exec_lo, s3
	v_and_b32_e32 v28, 0xffff0000, v21
	v_and_b32_e32 v21, 0xffff0000, v22
	s_delay_alu instid0(VALU_DEP_1) | instskip(NEXT) | instid1(VALU_DEP_1)
	v_fmac_f32_e32 v28, v21, v70
	v_and_b32_e32 v21, 0x7f800000, v28
	s_delay_alu instid0(VALU_DEP_1) | instskip(NEXT) | instid1(VALU_DEP_1)
	v_cmp_ne_u32_e64 s2, 0x7f800000, v21
                                        ; implicit-def: $vgpr21
	s_and_saveexec_b32 s3, s2
	s_delay_alu instid0(SALU_CYCLE_1)
	s_xor_b32 s2, exec_lo, s3
; %bb.335:
	v_bfe_u32 v21, v28, 16, 1
	s_delay_alu instid0(VALU_DEP_1)
	v_add3_u32 v21, v28, v21, 0x7fff
                                        ; implicit-def: $vgpr28
; %bb.336:
	s_and_not1_saveexec_b32 s3, s2
; %bb.337:
	v_and_b32_e32 v21, 0xffff, v28
	v_or_b32_e32 v22, 0x10000, v28
	s_delay_alu instid0(VALU_DEP_2) | instskip(NEXT) | instid1(VALU_DEP_1)
	v_cmp_eq_u32_e64 s2, 0, v21
	v_cndmask_b32_e64 v21, v22, v28, s2
; %bb.338:
	s_or_b32 exec_lo, exec_lo, s3
	v_and_b32_e32 v27, 0xffff0000, v27
	v_lshlrev_b32_e32 v22, 16, v23
	s_delay_alu instid0(VALU_DEP_1) | instskip(NEXT) | instid1(VALU_DEP_1)
	v_fmac_f32_e32 v27, v22, v69
	v_and_b32_e32 v22, 0x7f800000, v27
	s_delay_alu instid0(VALU_DEP_1) | instskip(NEXT) | instid1(VALU_DEP_1)
	v_cmp_ne_u32_e64 s2, 0x7f800000, v22
                                        ; implicit-def: $vgpr22
	s_and_saveexec_b32 s3, s2
	s_delay_alu instid0(SALU_CYCLE_1)
	s_xor_b32 s2, exec_lo, s3
; %bb.339:
	v_bfe_u32 v22, v27, 16, 1
	s_delay_alu instid0(VALU_DEP_1)
	v_add3_u32 v22, v27, v22, 0x7fff
                                        ; implicit-def: $vgpr27
; %bb.340:
	s_and_not1_saveexec_b32 s3, s2
; %bb.341:
	v_and_b32_e32 v22, 0xffff, v27
	v_or_b32_e32 v28, 0x10000, v27
	s_delay_alu instid0(VALU_DEP_2) | instskip(NEXT) | instid1(VALU_DEP_1)
	v_cmp_eq_u32_e64 s2, 0, v22
	v_cndmask_b32_e64 v22, v28, v27, s2
; %bb.342:
	s_or_b32 exec_lo, exec_lo, s3
	v_and_b32_e32 v21, 0xffff0000, v21
	v_and_b32_e32 v23, 0xffff0000, v23
	s_delay_alu instid0(VALU_DEP_1) | instskip(NEXT) | instid1(VALU_DEP_1)
	v_fmac_f32_e32 v21, v23, v68
	v_and_b32_e32 v23, 0x7f800000, v21
	s_delay_alu instid0(VALU_DEP_1) | instskip(NEXT) | instid1(VALU_DEP_1)
	v_cmp_ne_u32_e64 s2, 0x7f800000, v23
                                        ; implicit-def: $vgpr23
	s_and_saveexec_b32 s3, s2
	s_delay_alu instid0(SALU_CYCLE_1)
	s_xor_b32 s2, exec_lo, s3
; %bb.343:
	v_bfe_u32 v23, v21, 16, 1
	s_delay_alu instid0(VALU_DEP_1)
	v_add3_u32 v23, v21, v23, 0x7fff
                                        ; implicit-def: $vgpr21
; %bb.344:
	s_and_not1_saveexec_b32 s3, s2
; %bb.345:
	v_and_b32_e32 v23, 0xffff, v21
	v_or_b32_e32 v27, 0x10000, v21
	s_delay_alu instid0(VALU_DEP_2) | instskip(NEXT) | instid1(VALU_DEP_1)
	v_cmp_eq_u32_e64 s2, 0, v23
	v_cndmask_b32_e64 v23, v27, v21, s2
; %bb.346:
	s_or_b32 exec_lo, exec_lo, s3
	v_and_b32_e32 v22, 0xffff0000, v22
	v_lshlrev_b32_e32 v21, 16, v24
	s_delay_alu instid0(VALU_DEP_1) | instskip(NEXT) | instid1(VALU_DEP_1)
	v_fmac_f32_e32 v22, v21, v66
	v_and_b32_e32 v21, 0x7f800000, v22
	s_delay_alu instid0(VALU_DEP_1) | instskip(NEXT) | instid1(VALU_DEP_1)
	v_cmp_ne_u32_e64 s2, 0x7f800000, v21
                                        ; implicit-def: $vgpr21
	s_and_saveexec_b32 s3, s2
	s_delay_alu instid0(SALU_CYCLE_1)
	s_xor_b32 s2, exec_lo, s3
; %bb.347:
	v_bfe_u32 v21, v22, 16, 1
	s_delay_alu instid0(VALU_DEP_1)
	v_add3_u32 v21, v22, v21, 0x7fff
                                        ; implicit-def: $vgpr22
; %bb.348:
	s_and_not1_saveexec_b32 s3, s2
; %bb.349:
	v_and_b32_e32 v21, 0xffff, v22
	v_or_b32_e32 v27, 0x10000, v22
	s_delay_alu instid0(VALU_DEP_2) | instskip(NEXT) | instid1(VALU_DEP_1)
	v_cmp_eq_u32_e64 s2, 0, v21
	v_cndmask_b32_e64 v21, v27, v22, s2
; %bb.350:
	s_or_b32 exec_lo, exec_lo, s3
	v_and_b32_e32 v23, 0xffff0000, v23
	v_and_b32_e32 v22, 0xffff0000, v24
	s_delay_alu instid0(VALU_DEP_1) | instskip(NEXT) | instid1(VALU_DEP_1)
	v_fmac_f32_e32 v23, v22, v67
	v_and_b32_e32 v22, 0x7f800000, v23
	s_delay_alu instid0(VALU_DEP_1) | instskip(NEXT) | instid1(VALU_DEP_1)
	v_cmp_ne_u32_e64 s2, 0x7f800000, v22
                                        ; implicit-def: $vgpr22
	s_and_saveexec_b32 s3, s2
	s_delay_alu instid0(SALU_CYCLE_1)
	s_xor_b32 s2, exec_lo, s3
; %bb.351:
	v_bfe_u32 v22, v23, 16, 1
	s_delay_alu instid0(VALU_DEP_1)
	v_add3_u32 v22, v23, v22, 0x7fff
                                        ; implicit-def: $vgpr23
; %bb.352:
	s_and_not1_saveexec_b32 s3, s2
; %bb.353:
	v_and_b32_e32 v22, 0xffff, v23
	v_or_b32_e32 v24, 0x10000, v23
	s_delay_alu instid0(VALU_DEP_2) | instskip(NEXT) | instid1(VALU_DEP_1)
	v_cmp_eq_u32_e64 s2, 0, v22
	v_cndmask_b32_e64 v22, v24, v23, s2
; %bb.354:
	s_or_b32 exec_lo, exec_lo, s3
	s_waitcnt vmcnt(4)
	v_lshlrev_b32_e32 v23, 16, v17
	s_delay_alu instid0(VALU_DEP_1) | instskip(NEXT) | instid1(VALU_DEP_1)
	v_mul_f32_e32 v24, v73, v23
	v_and_b32_e32 v23, 0x7f800000, v24
	s_delay_alu instid0(VALU_DEP_1) | instskip(NEXT) | instid1(VALU_DEP_1)
	v_cmp_ne_u32_e64 s2, 0x7f800000, v23
                                        ; implicit-def: $vgpr23
	s_and_saveexec_b32 s3, s2
	s_delay_alu instid0(SALU_CYCLE_1)
	s_xor_b32 s2, exec_lo, s3
; %bb.355:
	v_bfe_u32 v23, v24, 16, 1
	s_delay_alu instid0(VALU_DEP_1)
	v_add3_u32 v23, v24, v23, 0x7fff
                                        ; implicit-def: $vgpr24
; %bb.356:
	s_and_not1_saveexec_b32 s3, s2
; %bb.357:
	v_and_b32_e32 v23, 0xffff, v24
	v_or_b32_e32 v27, 0x10000, v24
	s_delay_alu instid0(VALU_DEP_2) | instskip(NEXT) | instid1(VALU_DEP_1)
	v_cmp_eq_u32_e64 s2, 0, v23
	v_cndmask_b32_e64 v23, v27, v24, s2
; %bb.358:
	s_or_b32 exec_lo, exec_lo, s3
	v_and_b32_e32 v17, 0xffff0000, v17
	s_delay_alu instid0(VALU_DEP_1) | instskip(NEXT) | instid1(VALU_DEP_1)
	v_mul_f32_e32 v24, v72, v17
	v_and_b32_e32 v17, 0x7f800000, v24
	s_delay_alu instid0(VALU_DEP_1) | instskip(NEXT) | instid1(VALU_DEP_1)
	v_cmp_ne_u32_e64 s2, 0x7f800000, v17
                                        ; implicit-def: $vgpr17
	s_and_saveexec_b32 s3, s2
	s_delay_alu instid0(SALU_CYCLE_1)
	s_xor_b32 s2, exec_lo, s3
; %bb.359:
	v_bfe_u32 v17, v24, 16, 1
	s_delay_alu instid0(VALU_DEP_1)
	v_add3_u32 v17, v24, v17, 0x7fff
                                        ; implicit-def: $vgpr24
; %bb.360:
	s_and_not1_saveexec_b32 s3, s2
; %bb.361:
	v_and_b32_e32 v17, 0xffff, v24
	v_or_b32_e32 v27, 0x10000, v24
	s_delay_alu instid0(VALU_DEP_2) | instskip(NEXT) | instid1(VALU_DEP_1)
	v_cmp_eq_u32_e64 s2, 0, v17
	v_cndmask_b32_e64 v17, v27, v24, s2
; %bb.362:
	s_or_b32 exec_lo, exec_lo, s3
	v_and_b32_e32 v24, 0xffff0000, v23
	v_lshlrev_b32_e32 v23, 16, v18
	s_delay_alu instid0(VALU_DEP_1) | instskip(NEXT) | instid1(VALU_DEP_1)
	v_fmac_f32_e32 v24, v23, v71
	v_and_b32_e32 v23, 0x7f800000, v24
	s_delay_alu instid0(VALU_DEP_1) | instskip(NEXT) | instid1(VALU_DEP_1)
	v_cmp_ne_u32_e64 s2, 0x7f800000, v23
                                        ; implicit-def: $vgpr23
	s_and_saveexec_b32 s3, s2
	s_delay_alu instid0(SALU_CYCLE_1)
	s_xor_b32 s2, exec_lo, s3
; %bb.363:
	v_bfe_u32 v23, v24, 16, 1
	s_delay_alu instid0(VALU_DEP_1)
	v_add3_u32 v23, v24, v23, 0x7fff
                                        ; implicit-def: $vgpr24
; %bb.364:
	s_and_not1_saveexec_b32 s3, s2
; %bb.365:
	v_and_b32_e32 v23, 0xffff, v24
	v_or_b32_e32 v27, 0x10000, v24
	s_delay_alu instid0(VALU_DEP_2) | instskip(NEXT) | instid1(VALU_DEP_1)
	v_cmp_eq_u32_e64 s2, 0, v23
	v_cndmask_b32_e64 v23, v27, v24, s2
; %bb.366:
	s_or_b32 exec_lo, exec_lo, s3
	v_and_b32_e32 v24, 0xffff0000, v17
	v_and_b32_e32 v17, 0xffff0000, v18
	s_delay_alu instid0(VALU_DEP_1) | instskip(NEXT) | instid1(VALU_DEP_1)
	v_fmac_f32_e32 v24, v17, v70
	v_and_b32_e32 v17, 0x7f800000, v24
	s_delay_alu instid0(VALU_DEP_1) | instskip(NEXT) | instid1(VALU_DEP_1)
	v_cmp_ne_u32_e64 s2, 0x7f800000, v17
                                        ; implicit-def: $vgpr17
	s_and_saveexec_b32 s3, s2
	s_delay_alu instid0(SALU_CYCLE_1)
	s_xor_b32 s2, exec_lo, s3
; %bb.367:
	v_bfe_u32 v17, v24, 16, 1
	s_delay_alu instid0(VALU_DEP_1)
	v_add3_u32 v17, v24, v17, 0x7fff
                                        ; implicit-def: $vgpr24
; %bb.368:
	s_and_not1_saveexec_b32 s3, s2
; %bb.369:
	v_and_b32_e32 v17, 0xffff, v24
	v_or_b32_e32 v18, 0x10000, v24
	s_delay_alu instid0(VALU_DEP_2) | instskip(NEXT) | instid1(VALU_DEP_1)
	v_cmp_eq_u32_e64 s2, 0, v17
	v_cndmask_b32_e64 v17, v18, v24, s2
; %bb.370:
	s_or_b32 exec_lo, exec_lo, s3
	v_and_b32_e32 v23, 0xffff0000, v23
	v_lshlrev_b32_e32 v18, 16, v19
	s_delay_alu instid0(VALU_DEP_1) | instskip(NEXT) | instid1(VALU_DEP_1)
	v_fmac_f32_e32 v23, v18, v69
	v_and_b32_e32 v18, 0x7f800000, v23
	s_delay_alu instid0(VALU_DEP_1) | instskip(NEXT) | instid1(VALU_DEP_1)
	v_cmp_ne_u32_e64 s2, 0x7f800000, v18
                                        ; implicit-def: $vgpr18
	s_and_saveexec_b32 s3, s2
	s_delay_alu instid0(SALU_CYCLE_1)
	s_xor_b32 s2, exec_lo, s3
; %bb.371:
	v_bfe_u32 v18, v23, 16, 1
	s_delay_alu instid0(VALU_DEP_1)
	v_add3_u32 v18, v23, v18, 0x7fff
                                        ; implicit-def: $vgpr23
; %bb.372:
	s_and_not1_saveexec_b32 s3, s2
; %bb.373:
	v_and_b32_e32 v18, 0xffff, v23
	v_or_b32_e32 v24, 0x10000, v23
	s_delay_alu instid0(VALU_DEP_2) | instskip(NEXT) | instid1(VALU_DEP_1)
	v_cmp_eq_u32_e64 s2, 0, v18
	v_cndmask_b32_e64 v18, v24, v23, s2
; %bb.374:
	s_or_b32 exec_lo, exec_lo, s3
	v_and_b32_e32 v17, 0xffff0000, v17
	v_and_b32_e32 v19, 0xffff0000, v19
	s_delay_alu instid0(VALU_DEP_1) | instskip(NEXT) | instid1(VALU_DEP_1)
	v_fmac_f32_e32 v17, v19, v68
	v_and_b32_e32 v19, 0x7f800000, v17
	s_delay_alu instid0(VALU_DEP_1) | instskip(NEXT) | instid1(VALU_DEP_1)
	v_cmp_ne_u32_e64 s2, 0x7f800000, v19
                                        ; implicit-def: $vgpr19
	s_and_saveexec_b32 s3, s2
	s_delay_alu instid0(SALU_CYCLE_1)
	s_xor_b32 s2, exec_lo, s3
; %bb.375:
	v_bfe_u32 v19, v17, 16, 1
	s_delay_alu instid0(VALU_DEP_1)
	v_add3_u32 v19, v17, v19, 0x7fff
                                        ; implicit-def: $vgpr17
; %bb.376:
	s_and_not1_saveexec_b32 s3, s2
; %bb.377:
	v_and_b32_e32 v19, 0xffff, v17
	v_or_b32_e32 v23, 0x10000, v17
	s_delay_alu instid0(VALU_DEP_2) | instskip(NEXT) | instid1(VALU_DEP_1)
	v_cmp_eq_u32_e64 s2, 0, v19
	v_cndmask_b32_e64 v19, v23, v17, s2
; %bb.378:
	s_or_b32 exec_lo, exec_lo, s3
	v_and_b32_e32 v18, 0xffff0000, v18
	v_lshlrev_b32_e32 v17, 16, v20
	s_delay_alu instid0(VALU_DEP_1) | instskip(NEXT) | instid1(VALU_DEP_1)
	v_fmac_f32_e32 v18, v17, v66
	v_and_b32_e32 v17, 0x7f800000, v18
	s_delay_alu instid0(VALU_DEP_1) | instskip(NEXT) | instid1(VALU_DEP_1)
	v_cmp_ne_u32_e64 s2, 0x7f800000, v17
                                        ; implicit-def: $vgpr17
	s_and_saveexec_b32 s3, s2
	s_delay_alu instid0(SALU_CYCLE_1)
	s_xor_b32 s2, exec_lo, s3
; %bb.379:
	v_bfe_u32 v17, v18, 16, 1
	s_delay_alu instid0(VALU_DEP_1)
	v_add3_u32 v17, v18, v17, 0x7fff
                                        ; implicit-def: $vgpr18
; %bb.380:
	s_and_not1_saveexec_b32 s3, s2
; %bb.381:
	v_and_b32_e32 v17, 0xffff, v18
	v_or_b32_e32 v23, 0x10000, v18
	s_delay_alu instid0(VALU_DEP_2) | instskip(NEXT) | instid1(VALU_DEP_1)
	v_cmp_eq_u32_e64 s2, 0, v17
	v_cndmask_b32_e64 v17, v23, v18, s2
; %bb.382:
	s_or_b32 exec_lo, exec_lo, s3
	v_and_b32_e32 v19, 0xffff0000, v19
	v_and_b32_e32 v18, 0xffff0000, v20
	s_delay_alu instid0(VALU_DEP_1) | instskip(NEXT) | instid1(VALU_DEP_1)
	v_fmac_f32_e32 v19, v18, v67
	v_and_b32_e32 v18, 0x7f800000, v19
	s_delay_alu instid0(VALU_DEP_1) | instskip(NEXT) | instid1(VALU_DEP_1)
	v_cmp_ne_u32_e64 s2, 0x7f800000, v18
                                        ; implicit-def: $vgpr18
	s_and_saveexec_b32 s3, s2
	s_delay_alu instid0(SALU_CYCLE_1)
	s_xor_b32 s2, exec_lo, s3
; %bb.383:
	v_bfe_u32 v18, v19, 16, 1
	s_delay_alu instid0(VALU_DEP_1)
	v_add3_u32 v18, v19, v18, 0x7fff
                                        ; implicit-def: $vgpr19
; %bb.384:
	s_and_not1_saveexec_b32 s3, s2
; %bb.385:
	v_and_b32_e32 v18, 0xffff, v19
	v_or_b32_e32 v20, 0x10000, v19
	s_delay_alu instid0(VALU_DEP_2) | instskip(NEXT) | instid1(VALU_DEP_1)
	v_cmp_eq_u32_e64 s2, 0, v18
	v_cndmask_b32_e64 v18, v20, v19, s2
; %bb.386:
	s_or_b32 exec_lo, exec_lo, s3
	s_waitcnt vmcnt(3)
	v_lshlrev_b32_e32 v19, 16, v13
	s_delay_alu instid0(VALU_DEP_1) | instskip(NEXT) | instid1(VALU_DEP_1)
	v_mul_f32_e32 v20, v73, v19
	v_and_b32_e32 v19, 0x7f800000, v20
	s_delay_alu instid0(VALU_DEP_1) | instskip(NEXT) | instid1(VALU_DEP_1)
	v_cmp_ne_u32_e64 s2, 0x7f800000, v19
                                        ; implicit-def: $vgpr19
	s_and_saveexec_b32 s3, s2
	s_delay_alu instid0(SALU_CYCLE_1)
	s_xor_b32 s2, exec_lo, s3
; %bb.387:
	v_bfe_u32 v19, v20, 16, 1
	s_delay_alu instid0(VALU_DEP_1)
	v_add3_u32 v19, v20, v19, 0x7fff
                                        ; implicit-def: $vgpr20
; %bb.388:
	s_and_not1_saveexec_b32 s3, s2
; %bb.389:
	v_and_b32_e32 v19, 0xffff, v20
	v_or_b32_e32 v23, 0x10000, v20
	s_delay_alu instid0(VALU_DEP_2) | instskip(NEXT) | instid1(VALU_DEP_1)
	v_cmp_eq_u32_e64 s2, 0, v19
	v_cndmask_b32_e64 v19, v23, v20, s2
; %bb.390:
	s_or_b32 exec_lo, exec_lo, s3
	v_and_b32_e32 v13, 0xffff0000, v13
	s_delay_alu instid0(VALU_DEP_1) | instskip(NEXT) | instid1(VALU_DEP_1)
	v_mul_f32_e32 v20, v72, v13
	v_and_b32_e32 v13, 0x7f800000, v20
	s_delay_alu instid0(VALU_DEP_1) | instskip(NEXT) | instid1(VALU_DEP_1)
	v_cmp_ne_u32_e64 s2, 0x7f800000, v13
                                        ; implicit-def: $vgpr13
	s_and_saveexec_b32 s3, s2
	s_delay_alu instid0(SALU_CYCLE_1)
	s_xor_b32 s2, exec_lo, s3
; %bb.391:
	v_bfe_u32 v13, v20, 16, 1
	s_delay_alu instid0(VALU_DEP_1)
	v_add3_u32 v13, v20, v13, 0x7fff
                                        ; implicit-def: $vgpr20
; %bb.392:
	s_and_not1_saveexec_b32 s3, s2
; %bb.393:
	v_and_b32_e32 v13, 0xffff, v20
	v_or_b32_e32 v23, 0x10000, v20
	s_delay_alu instid0(VALU_DEP_2) | instskip(NEXT) | instid1(VALU_DEP_1)
	v_cmp_eq_u32_e64 s2, 0, v13
	v_cndmask_b32_e64 v13, v23, v20, s2
; %bb.394:
	s_or_b32 exec_lo, exec_lo, s3
	v_and_b32_e32 v20, 0xffff0000, v19
	v_lshlrev_b32_e32 v19, 16, v14
	s_delay_alu instid0(VALU_DEP_1) | instskip(NEXT) | instid1(VALU_DEP_1)
	v_fmac_f32_e32 v20, v19, v71
	v_and_b32_e32 v19, 0x7f800000, v20
	s_delay_alu instid0(VALU_DEP_1) | instskip(NEXT) | instid1(VALU_DEP_1)
	v_cmp_ne_u32_e64 s2, 0x7f800000, v19
                                        ; implicit-def: $vgpr19
	s_and_saveexec_b32 s3, s2
	s_delay_alu instid0(SALU_CYCLE_1)
	s_xor_b32 s2, exec_lo, s3
; %bb.395:
	v_bfe_u32 v19, v20, 16, 1
	s_delay_alu instid0(VALU_DEP_1)
	v_add3_u32 v19, v20, v19, 0x7fff
                                        ; implicit-def: $vgpr20
; %bb.396:
	s_and_not1_saveexec_b32 s3, s2
; %bb.397:
	v_and_b32_e32 v19, 0xffff, v20
	v_or_b32_e32 v23, 0x10000, v20
	s_delay_alu instid0(VALU_DEP_2) | instskip(NEXT) | instid1(VALU_DEP_1)
	v_cmp_eq_u32_e64 s2, 0, v19
	v_cndmask_b32_e64 v19, v23, v20, s2
; %bb.398:
	s_or_b32 exec_lo, exec_lo, s3
	v_and_b32_e32 v20, 0xffff0000, v13
	v_and_b32_e32 v13, 0xffff0000, v14
	s_delay_alu instid0(VALU_DEP_1) | instskip(NEXT) | instid1(VALU_DEP_1)
	v_fmac_f32_e32 v20, v13, v70
	v_and_b32_e32 v13, 0x7f800000, v20
	s_delay_alu instid0(VALU_DEP_1) | instskip(NEXT) | instid1(VALU_DEP_1)
	v_cmp_ne_u32_e64 s2, 0x7f800000, v13
                                        ; implicit-def: $vgpr13
	s_and_saveexec_b32 s3, s2
	s_delay_alu instid0(SALU_CYCLE_1)
	s_xor_b32 s2, exec_lo, s3
; %bb.399:
	v_bfe_u32 v13, v20, 16, 1
	s_delay_alu instid0(VALU_DEP_1)
	v_add3_u32 v13, v20, v13, 0x7fff
                                        ; implicit-def: $vgpr20
; %bb.400:
	s_and_not1_saveexec_b32 s3, s2
; %bb.401:
	v_and_b32_e32 v13, 0xffff, v20
	v_or_b32_e32 v14, 0x10000, v20
	s_delay_alu instid0(VALU_DEP_2) | instskip(NEXT) | instid1(VALU_DEP_1)
	v_cmp_eq_u32_e64 s2, 0, v13
	v_cndmask_b32_e64 v13, v14, v20, s2
; %bb.402:
	s_or_b32 exec_lo, exec_lo, s3
	v_and_b32_e32 v19, 0xffff0000, v19
	v_lshlrev_b32_e32 v14, 16, v15
	s_delay_alu instid0(VALU_DEP_1) | instskip(NEXT) | instid1(VALU_DEP_1)
	v_fmac_f32_e32 v19, v14, v69
	v_and_b32_e32 v14, 0x7f800000, v19
	s_delay_alu instid0(VALU_DEP_1) | instskip(NEXT) | instid1(VALU_DEP_1)
	v_cmp_ne_u32_e64 s2, 0x7f800000, v14
                                        ; implicit-def: $vgpr14
	s_and_saveexec_b32 s3, s2
	s_delay_alu instid0(SALU_CYCLE_1)
	s_xor_b32 s2, exec_lo, s3
; %bb.403:
	v_bfe_u32 v14, v19, 16, 1
	s_delay_alu instid0(VALU_DEP_1)
	v_add3_u32 v14, v19, v14, 0x7fff
                                        ; implicit-def: $vgpr19
; %bb.404:
	s_and_not1_saveexec_b32 s3, s2
; %bb.405:
	v_and_b32_e32 v14, 0xffff, v19
	v_or_b32_e32 v20, 0x10000, v19
	s_delay_alu instid0(VALU_DEP_2) | instskip(NEXT) | instid1(VALU_DEP_1)
	v_cmp_eq_u32_e64 s2, 0, v14
	v_cndmask_b32_e64 v14, v20, v19, s2
; %bb.406:
	s_or_b32 exec_lo, exec_lo, s3
	v_and_b32_e32 v13, 0xffff0000, v13
	v_and_b32_e32 v15, 0xffff0000, v15
	s_delay_alu instid0(VALU_DEP_1) | instskip(NEXT) | instid1(VALU_DEP_1)
	v_fmac_f32_e32 v13, v15, v68
	v_and_b32_e32 v15, 0x7f800000, v13
	s_delay_alu instid0(VALU_DEP_1) | instskip(NEXT) | instid1(VALU_DEP_1)
	v_cmp_ne_u32_e64 s2, 0x7f800000, v15
                                        ; implicit-def: $vgpr15
	s_and_saveexec_b32 s3, s2
	s_delay_alu instid0(SALU_CYCLE_1)
	s_xor_b32 s2, exec_lo, s3
; %bb.407:
	v_bfe_u32 v15, v13, 16, 1
	s_delay_alu instid0(VALU_DEP_1)
	v_add3_u32 v15, v13, v15, 0x7fff
                                        ; implicit-def: $vgpr13
; %bb.408:
	s_and_not1_saveexec_b32 s3, s2
; %bb.409:
	v_and_b32_e32 v15, 0xffff, v13
	v_or_b32_e32 v19, 0x10000, v13
	s_delay_alu instid0(VALU_DEP_2) | instskip(NEXT) | instid1(VALU_DEP_1)
	v_cmp_eq_u32_e64 s2, 0, v15
	v_cndmask_b32_e64 v15, v19, v13, s2
; %bb.410:
	s_or_b32 exec_lo, exec_lo, s3
	v_and_b32_e32 v14, 0xffff0000, v14
	v_lshlrev_b32_e32 v13, 16, v16
	s_delay_alu instid0(VALU_DEP_1) | instskip(NEXT) | instid1(VALU_DEP_1)
	v_fmac_f32_e32 v14, v13, v66
	v_and_b32_e32 v13, 0x7f800000, v14
	s_delay_alu instid0(VALU_DEP_1) | instskip(NEXT) | instid1(VALU_DEP_1)
	v_cmp_ne_u32_e64 s2, 0x7f800000, v13
                                        ; implicit-def: $vgpr13
	s_and_saveexec_b32 s3, s2
	s_delay_alu instid0(SALU_CYCLE_1)
	s_xor_b32 s2, exec_lo, s3
; %bb.411:
	v_bfe_u32 v13, v14, 16, 1
	s_delay_alu instid0(VALU_DEP_1)
	v_add3_u32 v13, v14, v13, 0x7fff
                                        ; implicit-def: $vgpr14
; %bb.412:
	s_and_not1_saveexec_b32 s3, s2
; %bb.413:
	v_and_b32_e32 v13, 0xffff, v14
	v_or_b32_e32 v19, 0x10000, v14
	s_delay_alu instid0(VALU_DEP_2) | instskip(NEXT) | instid1(VALU_DEP_1)
	v_cmp_eq_u32_e64 s2, 0, v13
	v_cndmask_b32_e64 v13, v19, v14, s2
; %bb.414:
	s_or_b32 exec_lo, exec_lo, s3
	v_and_b32_e32 v15, 0xffff0000, v15
	v_and_b32_e32 v14, 0xffff0000, v16
	s_delay_alu instid0(VALU_DEP_1) | instskip(NEXT) | instid1(VALU_DEP_1)
	v_fmac_f32_e32 v15, v14, v67
	v_and_b32_e32 v14, 0x7f800000, v15
	s_delay_alu instid0(VALU_DEP_1) | instskip(NEXT) | instid1(VALU_DEP_1)
	v_cmp_ne_u32_e64 s2, 0x7f800000, v14
                                        ; implicit-def: $vgpr14
	s_and_saveexec_b32 s3, s2
	s_delay_alu instid0(SALU_CYCLE_1)
	s_xor_b32 s2, exec_lo, s3
; %bb.415:
	v_bfe_u32 v14, v15, 16, 1
	s_delay_alu instid0(VALU_DEP_1)
	v_add3_u32 v14, v15, v14, 0x7fff
                                        ; implicit-def: $vgpr15
; %bb.416:
	s_and_not1_saveexec_b32 s3, s2
; %bb.417:
	v_and_b32_e32 v14, 0xffff, v15
	v_or_b32_e32 v16, 0x10000, v15
	s_delay_alu instid0(VALU_DEP_2) | instskip(NEXT) | instid1(VALU_DEP_1)
	v_cmp_eq_u32_e64 s2, 0, v14
	v_cndmask_b32_e64 v14, v16, v15, s2
; %bb.418:
	s_or_b32 exec_lo, exec_lo, s3
	s_waitcnt vmcnt(2)
	v_lshlrev_b32_e32 v15, 16, v9
	s_delay_alu instid0(VALU_DEP_1) | instskip(NEXT) | instid1(VALU_DEP_1)
	v_mul_f32_e32 v16, v73, v15
	v_and_b32_e32 v15, 0x7f800000, v16
	s_delay_alu instid0(VALU_DEP_1) | instskip(NEXT) | instid1(VALU_DEP_1)
	v_cmp_ne_u32_e64 s2, 0x7f800000, v15
                                        ; implicit-def: $vgpr15
	s_and_saveexec_b32 s3, s2
	s_delay_alu instid0(SALU_CYCLE_1)
	s_xor_b32 s2, exec_lo, s3
; %bb.419:
	v_bfe_u32 v15, v16, 16, 1
	s_delay_alu instid0(VALU_DEP_1)
	v_add3_u32 v15, v16, v15, 0x7fff
                                        ; implicit-def: $vgpr16
; %bb.420:
	s_and_not1_saveexec_b32 s3, s2
; %bb.421:
	v_and_b32_e32 v15, 0xffff, v16
	v_or_b32_e32 v19, 0x10000, v16
	s_delay_alu instid0(VALU_DEP_2) | instskip(NEXT) | instid1(VALU_DEP_1)
	v_cmp_eq_u32_e64 s2, 0, v15
	v_cndmask_b32_e64 v15, v19, v16, s2
; %bb.422:
	s_or_b32 exec_lo, exec_lo, s3
	v_and_b32_e32 v9, 0xffff0000, v9
	s_delay_alu instid0(VALU_DEP_1) | instskip(NEXT) | instid1(VALU_DEP_1)
	v_mul_f32_e32 v16, v72, v9
	v_and_b32_e32 v9, 0x7f800000, v16
	s_delay_alu instid0(VALU_DEP_1) | instskip(NEXT) | instid1(VALU_DEP_1)
	v_cmp_ne_u32_e64 s2, 0x7f800000, v9
                                        ; implicit-def: $vgpr9
	s_and_saveexec_b32 s3, s2
	s_delay_alu instid0(SALU_CYCLE_1)
	s_xor_b32 s2, exec_lo, s3
; %bb.423:
	v_bfe_u32 v9, v16, 16, 1
	s_delay_alu instid0(VALU_DEP_1)
	v_add3_u32 v9, v16, v9, 0x7fff
                                        ; implicit-def: $vgpr16
; %bb.424:
	s_and_not1_saveexec_b32 s3, s2
; %bb.425:
	v_and_b32_e32 v9, 0xffff, v16
	v_or_b32_e32 v19, 0x10000, v16
	s_delay_alu instid0(VALU_DEP_2) | instskip(NEXT) | instid1(VALU_DEP_1)
	v_cmp_eq_u32_e64 s2, 0, v9
	v_cndmask_b32_e64 v9, v19, v16, s2
; %bb.426:
	s_or_b32 exec_lo, exec_lo, s3
	v_and_b32_e32 v16, 0xffff0000, v15
	v_lshlrev_b32_e32 v15, 16, v10
	s_delay_alu instid0(VALU_DEP_1) | instskip(NEXT) | instid1(VALU_DEP_1)
	v_fmac_f32_e32 v16, v15, v71
	v_and_b32_e32 v15, 0x7f800000, v16
	s_delay_alu instid0(VALU_DEP_1) | instskip(NEXT) | instid1(VALU_DEP_1)
	v_cmp_ne_u32_e64 s2, 0x7f800000, v15
                                        ; implicit-def: $vgpr15
	s_and_saveexec_b32 s3, s2
	s_delay_alu instid0(SALU_CYCLE_1)
	s_xor_b32 s2, exec_lo, s3
; %bb.427:
	v_bfe_u32 v15, v16, 16, 1
	s_delay_alu instid0(VALU_DEP_1)
	v_add3_u32 v15, v16, v15, 0x7fff
                                        ; implicit-def: $vgpr16
; %bb.428:
	s_and_not1_saveexec_b32 s3, s2
; %bb.429:
	v_and_b32_e32 v15, 0xffff, v16
	v_or_b32_e32 v19, 0x10000, v16
	s_delay_alu instid0(VALU_DEP_2) | instskip(NEXT) | instid1(VALU_DEP_1)
	v_cmp_eq_u32_e64 s2, 0, v15
	v_cndmask_b32_e64 v15, v19, v16, s2
; %bb.430:
	s_or_b32 exec_lo, exec_lo, s3
	v_and_b32_e32 v16, 0xffff0000, v9
	v_and_b32_e32 v9, 0xffff0000, v10
	s_delay_alu instid0(VALU_DEP_1) | instskip(NEXT) | instid1(VALU_DEP_1)
	v_fmac_f32_e32 v16, v9, v70
	v_and_b32_e32 v9, 0x7f800000, v16
	s_delay_alu instid0(VALU_DEP_1) | instskip(NEXT) | instid1(VALU_DEP_1)
	v_cmp_ne_u32_e64 s2, 0x7f800000, v9
                                        ; implicit-def: $vgpr9
	s_and_saveexec_b32 s3, s2
	s_delay_alu instid0(SALU_CYCLE_1)
	s_xor_b32 s2, exec_lo, s3
; %bb.431:
	v_bfe_u32 v9, v16, 16, 1
	s_delay_alu instid0(VALU_DEP_1)
	v_add3_u32 v9, v16, v9, 0x7fff
                                        ; implicit-def: $vgpr16
; %bb.432:
	s_and_not1_saveexec_b32 s3, s2
; %bb.433:
	v_and_b32_e32 v9, 0xffff, v16
	v_or_b32_e32 v10, 0x10000, v16
	s_delay_alu instid0(VALU_DEP_2) | instskip(NEXT) | instid1(VALU_DEP_1)
	v_cmp_eq_u32_e64 s2, 0, v9
	v_cndmask_b32_e64 v9, v10, v16, s2
; %bb.434:
	s_or_b32 exec_lo, exec_lo, s3
	v_and_b32_e32 v15, 0xffff0000, v15
	v_lshlrev_b32_e32 v10, 16, v11
	s_delay_alu instid0(VALU_DEP_1) | instskip(NEXT) | instid1(VALU_DEP_1)
	v_fmac_f32_e32 v15, v10, v69
	v_and_b32_e32 v10, 0x7f800000, v15
	s_delay_alu instid0(VALU_DEP_1) | instskip(NEXT) | instid1(VALU_DEP_1)
	v_cmp_ne_u32_e64 s2, 0x7f800000, v10
                                        ; implicit-def: $vgpr10
	s_and_saveexec_b32 s3, s2
	s_delay_alu instid0(SALU_CYCLE_1)
	s_xor_b32 s2, exec_lo, s3
; %bb.435:
	v_bfe_u32 v10, v15, 16, 1
	s_delay_alu instid0(VALU_DEP_1)
	v_add3_u32 v10, v15, v10, 0x7fff
                                        ; implicit-def: $vgpr15
; %bb.436:
	s_and_not1_saveexec_b32 s3, s2
; %bb.437:
	v_and_b32_e32 v10, 0xffff, v15
	v_or_b32_e32 v16, 0x10000, v15
	s_delay_alu instid0(VALU_DEP_2) | instskip(NEXT) | instid1(VALU_DEP_1)
	v_cmp_eq_u32_e64 s2, 0, v10
	v_cndmask_b32_e64 v10, v16, v15, s2
; %bb.438:
	s_or_b32 exec_lo, exec_lo, s3
	v_and_b32_e32 v9, 0xffff0000, v9
	v_and_b32_e32 v11, 0xffff0000, v11
	s_delay_alu instid0(VALU_DEP_1) | instskip(NEXT) | instid1(VALU_DEP_1)
	v_fmac_f32_e32 v9, v11, v68
	v_and_b32_e32 v11, 0x7f800000, v9
	s_delay_alu instid0(VALU_DEP_1) | instskip(NEXT) | instid1(VALU_DEP_1)
	v_cmp_ne_u32_e64 s2, 0x7f800000, v11
                                        ; implicit-def: $vgpr11
	s_and_saveexec_b32 s3, s2
	s_delay_alu instid0(SALU_CYCLE_1)
	s_xor_b32 s2, exec_lo, s3
; %bb.439:
	v_bfe_u32 v11, v9, 16, 1
	s_delay_alu instid0(VALU_DEP_1)
	v_add3_u32 v11, v9, v11, 0x7fff
                                        ; implicit-def: $vgpr9
; %bb.440:
	s_and_not1_saveexec_b32 s3, s2
; %bb.441:
	v_and_b32_e32 v11, 0xffff, v9
	v_or_b32_e32 v15, 0x10000, v9
	s_delay_alu instid0(VALU_DEP_2) | instskip(NEXT) | instid1(VALU_DEP_1)
	v_cmp_eq_u32_e64 s2, 0, v11
	v_cndmask_b32_e64 v11, v15, v9, s2
; %bb.442:
	s_or_b32 exec_lo, exec_lo, s3
	v_and_b32_e32 v10, 0xffff0000, v10
	v_lshlrev_b32_e32 v9, 16, v12
	s_delay_alu instid0(VALU_DEP_1) | instskip(NEXT) | instid1(VALU_DEP_1)
	v_fmac_f32_e32 v10, v9, v66
	v_and_b32_e32 v9, 0x7f800000, v10
	s_delay_alu instid0(VALU_DEP_1) | instskip(NEXT) | instid1(VALU_DEP_1)
	v_cmp_ne_u32_e64 s2, 0x7f800000, v9
                                        ; implicit-def: $vgpr9
	s_and_saveexec_b32 s3, s2
	s_delay_alu instid0(SALU_CYCLE_1)
	s_xor_b32 s2, exec_lo, s3
; %bb.443:
	v_bfe_u32 v9, v10, 16, 1
	s_delay_alu instid0(VALU_DEP_1)
	v_add3_u32 v9, v10, v9, 0x7fff
                                        ; implicit-def: $vgpr10
; %bb.444:
	s_and_not1_saveexec_b32 s3, s2
; %bb.445:
	v_and_b32_e32 v9, 0xffff, v10
	v_or_b32_e32 v15, 0x10000, v10
	s_delay_alu instid0(VALU_DEP_2) | instskip(NEXT) | instid1(VALU_DEP_1)
	v_cmp_eq_u32_e64 s2, 0, v9
	v_cndmask_b32_e64 v9, v15, v10, s2
; %bb.446:
	s_or_b32 exec_lo, exec_lo, s3
	v_and_b32_e32 v11, 0xffff0000, v11
	v_and_b32_e32 v10, 0xffff0000, v12
	s_delay_alu instid0(VALU_DEP_1) | instskip(NEXT) | instid1(VALU_DEP_1)
	v_fmac_f32_e32 v11, v10, v67
	v_and_b32_e32 v10, 0x7f800000, v11
	s_delay_alu instid0(VALU_DEP_1) | instskip(NEXT) | instid1(VALU_DEP_1)
	v_cmp_ne_u32_e64 s2, 0x7f800000, v10
                                        ; implicit-def: $vgpr10
	s_and_saveexec_b32 s3, s2
	s_delay_alu instid0(SALU_CYCLE_1)
	s_xor_b32 s2, exec_lo, s3
; %bb.447:
	v_bfe_u32 v10, v11, 16, 1
	s_delay_alu instid0(VALU_DEP_1)
	v_add3_u32 v10, v11, v10, 0x7fff
                                        ; implicit-def: $vgpr11
; %bb.448:
	s_and_not1_saveexec_b32 s3, s2
; %bb.449:
	v_and_b32_e32 v10, 0xffff, v11
	v_or_b32_e32 v12, 0x10000, v11
	s_delay_alu instid0(VALU_DEP_2) | instskip(NEXT) | instid1(VALU_DEP_1)
	v_cmp_eq_u32_e64 s2, 0, v10
	v_cndmask_b32_e64 v10, v12, v11, s2
; %bb.450:
	s_or_b32 exec_lo, exec_lo, s3
	s_waitcnt vmcnt(1)
	v_lshlrev_b32_e32 v11, 16, v5
	s_delay_alu instid0(VALU_DEP_1) | instskip(NEXT) | instid1(VALU_DEP_1)
	v_mul_f32_e32 v12, v73, v11
	v_and_b32_e32 v11, 0x7f800000, v12
	s_delay_alu instid0(VALU_DEP_1) | instskip(NEXT) | instid1(VALU_DEP_1)
	v_cmp_ne_u32_e64 s2, 0x7f800000, v11
                                        ; implicit-def: $vgpr11
	s_and_saveexec_b32 s3, s2
	s_delay_alu instid0(SALU_CYCLE_1)
	s_xor_b32 s2, exec_lo, s3
; %bb.451:
	v_bfe_u32 v11, v12, 16, 1
	s_delay_alu instid0(VALU_DEP_1)
	v_add3_u32 v11, v12, v11, 0x7fff
                                        ; implicit-def: $vgpr12
; %bb.452:
	s_and_not1_saveexec_b32 s3, s2
; %bb.453:
	v_and_b32_e32 v11, 0xffff, v12
	v_or_b32_e32 v15, 0x10000, v12
	s_delay_alu instid0(VALU_DEP_2) | instskip(NEXT) | instid1(VALU_DEP_1)
	v_cmp_eq_u32_e64 s2, 0, v11
	v_cndmask_b32_e64 v11, v15, v12, s2
; %bb.454:
	s_or_b32 exec_lo, exec_lo, s3
	v_and_b32_e32 v5, 0xffff0000, v5
	s_delay_alu instid0(VALU_DEP_1) | instskip(NEXT) | instid1(VALU_DEP_1)
	v_mul_f32_e32 v12, v72, v5
	v_and_b32_e32 v5, 0x7f800000, v12
	s_delay_alu instid0(VALU_DEP_1) | instskip(NEXT) | instid1(VALU_DEP_1)
	v_cmp_ne_u32_e64 s2, 0x7f800000, v5
                                        ; implicit-def: $vgpr5
	s_and_saveexec_b32 s3, s2
	s_delay_alu instid0(SALU_CYCLE_1)
	s_xor_b32 s2, exec_lo, s3
; %bb.455:
	v_bfe_u32 v5, v12, 16, 1
	s_delay_alu instid0(VALU_DEP_1)
	v_add3_u32 v5, v12, v5, 0x7fff
                                        ; implicit-def: $vgpr12
; %bb.456:
	s_and_not1_saveexec_b32 s3, s2
; %bb.457:
	v_and_b32_e32 v5, 0xffff, v12
	v_or_b32_e32 v15, 0x10000, v12
	s_delay_alu instid0(VALU_DEP_2) | instskip(NEXT) | instid1(VALU_DEP_1)
	v_cmp_eq_u32_e64 s2, 0, v5
	v_cndmask_b32_e64 v5, v15, v12, s2
; %bb.458:
	s_or_b32 exec_lo, exec_lo, s3
	v_and_b32_e32 v12, 0xffff0000, v11
	v_lshlrev_b32_e32 v11, 16, v6
	s_delay_alu instid0(VALU_DEP_1) | instskip(NEXT) | instid1(VALU_DEP_1)
	v_fmac_f32_e32 v12, v11, v71
	v_and_b32_e32 v11, 0x7f800000, v12
	s_delay_alu instid0(VALU_DEP_1) | instskip(NEXT) | instid1(VALU_DEP_1)
	v_cmp_ne_u32_e64 s2, 0x7f800000, v11
                                        ; implicit-def: $vgpr11
	s_and_saveexec_b32 s3, s2
	s_delay_alu instid0(SALU_CYCLE_1)
	s_xor_b32 s2, exec_lo, s3
; %bb.459:
	v_bfe_u32 v11, v12, 16, 1
	s_delay_alu instid0(VALU_DEP_1)
	v_add3_u32 v11, v12, v11, 0x7fff
                                        ; implicit-def: $vgpr12
; %bb.460:
	s_and_not1_saveexec_b32 s3, s2
; %bb.461:
	v_and_b32_e32 v11, 0xffff, v12
	v_or_b32_e32 v15, 0x10000, v12
	s_delay_alu instid0(VALU_DEP_2) | instskip(NEXT) | instid1(VALU_DEP_1)
	v_cmp_eq_u32_e64 s2, 0, v11
	v_cndmask_b32_e64 v11, v15, v12, s2
; %bb.462:
	s_or_b32 exec_lo, exec_lo, s3
	v_and_b32_e32 v12, 0xffff0000, v5
	v_and_b32_e32 v5, 0xffff0000, v6
	s_delay_alu instid0(VALU_DEP_1) | instskip(NEXT) | instid1(VALU_DEP_1)
	v_fmac_f32_e32 v12, v5, v70
	v_and_b32_e32 v5, 0x7f800000, v12
	s_delay_alu instid0(VALU_DEP_1) | instskip(NEXT) | instid1(VALU_DEP_1)
	v_cmp_ne_u32_e64 s2, 0x7f800000, v5
                                        ; implicit-def: $vgpr5
	s_and_saveexec_b32 s3, s2
	s_delay_alu instid0(SALU_CYCLE_1)
	s_xor_b32 s2, exec_lo, s3
; %bb.463:
	v_bfe_u32 v5, v12, 16, 1
	s_delay_alu instid0(VALU_DEP_1)
	v_add3_u32 v5, v12, v5, 0x7fff
                                        ; implicit-def: $vgpr12
; %bb.464:
	s_and_not1_saveexec_b32 s3, s2
; %bb.465:
	v_and_b32_e32 v5, 0xffff, v12
	v_or_b32_e32 v6, 0x10000, v12
	s_delay_alu instid0(VALU_DEP_2) | instskip(NEXT) | instid1(VALU_DEP_1)
	v_cmp_eq_u32_e64 s2, 0, v5
	v_cndmask_b32_e64 v5, v6, v12, s2
; %bb.466:
	s_or_b32 exec_lo, exec_lo, s3
	v_and_b32_e32 v11, 0xffff0000, v11
	v_lshlrev_b32_e32 v6, 16, v7
	s_delay_alu instid0(VALU_DEP_1) | instskip(NEXT) | instid1(VALU_DEP_1)
	v_fmac_f32_e32 v11, v6, v69
	v_and_b32_e32 v6, 0x7f800000, v11
	s_delay_alu instid0(VALU_DEP_1) | instskip(NEXT) | instid1(VALU_DEP_1)
	v_cmp_ne_u32_e64 s2, 0x7f800000, v6
                                        ; implicit-def: $vgpr6
	s_and_saveexec_b32 s3, s2
	s_delay_alu instid0(SALU_CYCLE_1)
	s_xor_b32 s2, exec_lo, s3
; %bb.467:
	v_bfe_u32 v6, v11, 16, 1
	s_delay_alu instid0(VALU_DEP_1)
	v_add3_u32 v6, v11, v6, 0x7fff
                                        ; implicit-def: $vgpr11
; %bb.468:
	s_and_not1_saveexec_b32 s3, s2
; %bb.469:
	v_and_b32_e32 v6, 0xffff, v11
	v_or_b32_e32 v12, 0x10000, v11
	s_delay_alu instid0(VALU_DEP_2) | instskip(NEXT) | instid1(VALU_DEP_1)
	v_cmp_eq_u32_e64 s2, 0, v6
	v_cndmask_b32_e64 v6, v12, v11, s2
; %bb.470:
	s_or_b32 exec_lo, exec_lo, s3
	v_and_b32_e32 v5, 0xffff0000, v5
	v_and_b32_e32 v7, 0xffff0000, v7
	s_delay_alu instid0(VALU_DEP_1) | instskip(NEXT) | instid1(VALU_DEP_1)
	v_fmac_f32_e32 v5, v7, v68
	v_and_b32_e32 v7, 0x7f800000, v5
	s_delay_alu instid0(VALU_DEP_1) | instskip(NEXT) | instid1(VALU_DEP_1)
	v_cmp_ne_u32_e64 s2, 0x7f800000, v7
                                        ; implicit-def: $vgpr7
	s_and_saveexec_b32 s3, s2
	s_delay_alu instid0(SALU_CYCLE_1)
	s_xor_b32 s2, exec_lo, s3
; %bb.471:
	v_bfe_u32 v7, v5, 16, 1
	s_delay_alu instid0(VALU_DEP_1)
	v_add3_u32 v7, v5, v7, 0x7fff
                                        ; implicit-def: $vgpr5
; %bb.472:
	s_and_not1_saveexec_b32 s3, s2
; %bb.473:
	v_and_b32_e32 v7, 0xffff, v5
	v_or_b32_e32 v11, 0x10000, v5
	s_delay_alu instid0(VALU_DEP_2) | instskip(NEXT) | instid1(VALU_DEP_1)
	v_cmp_eq_u32_e64 s2, 0, v7
	v_cndmask_b32_e64 v7, v11, v5, s2
; %bb.474:
	s_or_b32 exec_lo, exec_lo, s3
	v_and_b32_e32 v6, 0xffff0000, v6
	v_lshlrev_b32_e32 v5, 16, v8
	s_delay_alu instid0(VALU_DEP_1) | instskip(NEXT) | instid1(VALU_DEP_1)
	v_fmac_f32_e32 v6, v5, v66
	v_and_b32_e32 v5, 0x7f800000, v6
	s_delay_alu instid0(VALU_DEP_1) | instskip(NEXT) | instid1(VALU_DEP_1)
	v_cmp_ne_u32_e64 s2, 0x7f800000, v5
                                        ; implicit-def: $vgpr5
	s_and_saveexec_b32 s3, s2
	s_delay_alu instid0(SALU_CYCLE_1)
	s_xor_b32 s2, exec_lo, s3
; %bb.475:
	v_bfe_u32 v5, v6, 16, 1
	s_delay_alu instid0(VALU_DEP_1)
	v_add3_u32 v5, v6, v5, 0x7fff
                                        ; implicit-def: $vgpr6
; %bb.476:
	s_and_not1_saveexec_b32 s3, s2
; %bb.477:
	v_and_b32_e32 v5, 0xffff, v6
	v_or_b32_e32 v11, 0x10000, v6
	s_delay_alu instid0(VALU_DEP_2) | instskip(NEXT) | instid1(VALU_DEP_1)
	v_cmp_eq_u32_e64 s2, 0, v5
	v_cndmask_b32_e64 v5, v11, v6, s2
; %bb.478:
	s_or_b32 exec_lo, exec_lo, s3
	v_and_b32_e32 v7, 0xffff0000, v7
	v_and_b32_e32 v6, 0xffff0000, v8
	s_delay_alu instid0(VALU_DEP_1) | instskip(NEXT) | instid1(VALU_DEP_1)
	v_fmac_f32_e32 v7, v6, v67
	v_and_b32_e32 v6, 0x7f800000, v7
	s_delay_alu instid0(VALU_DEP_1) | instskip(NEXT) | instid1(VALU_DEP_1)
	v_cmp_ne_u32_e64 s2, 0x7f800000, v6
                                        ; implicit-def: $vgpr6
	s_and_saveexec_b32 s3, s2
	s_delay_alu instid0(SALU_CYCLE_1)
	s_xor_b32 s2, exec_lo, s3
; %bb.479:
	v_bfe_u32 v6, v7, 16, 1
	s_delay_alu instid0(VALU_DEP_1)
	v_add3_u32 v6, v7, v6, 0x7fff
                                        ; implicit-def: $vgpr7
; %bb.480:
	s_and_not1_saveexec_b32 s3, s2
; %bb.481:
	v_and_b32_e32 v6, 0xffff, v7
	v_or_b32_e32 v8, 0x10000, v7
	s_delay_alu instid0(VALU_DEP_2) | instskip(NEXT) | instid1(VALU_DEP_1)
	v_cmp_eq_u32_e64 s2, 0, v6
	v_cndmask_b32_e64 v6, v8, v7, s2
; %bb.482:
	s_or_b32 exec_lo, exec_lo, s3
	s_waitcnt vmcnt(0)
	v_lshlrev_b32_e32 v7, 16, v1
	s_delay_alu instid0(VALU_DEP_1) | instskip(NEXT) | instid1(VALU_DEP_1)
	v_mul_f32_e32 v8, v73, v7
	v_and_b32_e32 v7, 0x7f800000, v8
	s_delay_alu instid0(VALU_DEP_1) | instskip(NEXT) | instid1(VALU_DEP_1)
	v_cmp_ne_u32_e64 s2, 0x7f800000, v7
                                        ; implicit-def: $vgpr7
	s_and_saveexec_b32 s3, s2
	s_delay_alu instid0(SALU_CYCLE_1)
	s_xor_b32 s2, exec_lo, s3
; %bb.483:
	v_bfe_u32 v7, v8, 16, 1
	s_delay_alu instid0(VALU_DEP_1)
	v_add3_u32 v7, v8, v7, 0x7fff
                                        ; implicit-def: $vgpr8
; %bb.484:
	s_and_not1_saveexec_b32 s3, s2
; %bb.485:
	v_and_b32_e32 v7, 0xffff, v8
	v_or_b32_e32 v11, 0x10000, v8
	s_delay_alu instid0(VALU_DEP_2) | instskip(NEXT) | instid1(VALU_DEP_1)
	v_cmp_eq_u32_e64 s2, 0, v7
	v_cndmask_b32_e64 v7, v11, v8, s2
; %bb.486:
	s_or_b32 exec_lo, exec_lo, s3
	v_and_b32_e32 v1, 0xffff0000, v1
	s_delay_alu instid0(VALU_DEP_1) | instskip(NEXT) | instid1(VALU_DEP_1)
	v_mul_f32_e32 v8, v72, v1
	v_and_b32_e32 v1, 0x7f800000, v8
	s_delay_alu instid0(VALU_DEP_1) | instskip(NEXT) | instid1(VALU_DEP_1)
	v_cmp_ne_u32_e64 s2, 0x7f800000, v1
                                        ; implicit-def: $vgpr1
	s_and_saveexec_b32 s3, s2
	s_delay_alu instid0(SALU_CYCLE_1)
	s_xor_b32 s2, exec_lo, s3
; %bb.487:
	v_bfe_u32 v1, v8, 16, 1
	s_delay_alu instid0(VALU_DEP_1)
	v_add3_u32 v1, v8, v1, 0x7fff
                                        ; implicit-def: $vgpr8
; %bb.488:
	s_and_not1_saveexec_b32 s3, s2
; %bb.489:
	v_and_b32_e32 v1, 0xffff, v8
	v_or_b32_e32 v11, 0x10000, v8
	s_delay_alu instid0(VALU_DEP_2) | instskip(NEXT) | instid1(VALU_DEP_1)
	v_cmp_eq_u32_e64 s2, 0, v1
	v_cndmask_b32_e64 v1, v11, v8, s2
; %bb.490:
	s_or_b32 exec_lo, exec_lo, s3
	v_and_b32_e32 v8, 0xffff0000, v7
	v_lshlrev_b32_e32 v7, 16, v2
	s_delay_alu instid0(VALU_DEP_1) | instskip(NEXT) | instid1(VALU_DEP_1)
	v_fmac_f32_e32 v8, v7, v71
	v_and_b32_e32 v7, 0x7f800000, v8
	s_delay_alu instid0(VALU_DEP_1) | instskip(NEXT) | instid1(VALU_DEP_1)
	v_cmp_ne_u32_e64 s2, 0x7f800000, v7
                                        ; implicit-def: $vgpr7
	s_and_saveexec_b32 s3, s2
	s_delay_alu instid0(SALU_CYCLE_1)
	s_xor_b32 s2, exec_lo, s3
; %bb.491:
	v_bfe_u32 v7, v8, 16, 1
	s_delay_alu instid0(VALU_DEP_1)
	v_add3_u32 v7, v8, v7, 0x7fff
                                        ; implicit-def: $vgpr8
; %bb.492:
	s_and_not1_saveexec_b32 s3, s2
; %bb.493:
	v_and_b32_e32 v7, 0xffff, v8
	v_or_b32_e32 v11, 0x10000, v8
	s_delay_alu instid0(VALU_DEP_2) | instskip(NEXT) | instid1(VALU_DEP_1)
	v_cmp_eq_u32_e64 s2, 0, v7
	v_cndmask_b32_e64 v7, v11, v8, s2
; %bb.494:
	s_or_b32 exec_lo, exec_lo, s3
	v_and_b32_e32 v8, 0xffff0000, v1
	v_and_b32_e32 v1, 0xffff0000, v2
	s_delay_alu instid0(VALU_DEP_1) | instskip(NEXT) | instid1(VALU_DEP_1)
	v_fmac_f32_e32 v8, v1, v70
	v_and_b32_e32 v1, 0x7f800000, v8
	s_delay_alu instid0(VALU_DEP_1) | instskip(NEXT) | instid1(VALU_DEP_1)
	v_cmp_ne_u32_e64 s2, 0x7f800000, v1
                                        ; implicit-def: $vgpr1
	s_and_saveexec_b32 s3, s2
	s_delay_alu instid0(SALU_CYCLE_1)
	s_xor_b32 s2, exec_lo, s3
; %bb.495:
	v_bfe_u32 v1, v8, 16, 1
	s_delay_alu instid0(VALU_DEP_1)
	v_add3_u32 v1, v8, v1, 0x7fff
                                        ; implicit-def: $vgpr8
; %bb.496:
	s_and_not1_saveexec_b32 s3, s2
; %bb.497:
	v_and_b32_e32 v1, 0xffff, v8
	v_or_b32_e32 v2, 0x10000, v8
	s_delay_alu instid0(VALU_DEP_2) | instskip(NEXT) | instid1(VALU_DEP_1)
	v_cmp_eq_u32_e64 s2, 0, v1
	v_cndmask_b32_e64 v1, v2, v8, s2
; %bb.498:
	s_or_b32 exec_lo, exec_lo, s3
	v_and_b32_e32 v7, 0xffff0000, v7
	v_lshlrev_b32_e32 v2, 16, v3
	s_delay_alu instid0(VALU_DEP_1) | instskip(NEXT) | instid1(VALU_DEP_1)
	v_fmac_f32_e32 v7, v2, v69
	v_and_b32_e32 v2, 0x7f800000, v7
	s_delay_alu instid0(VALU_DEP_1) | instskip(NEXT) | instid1(VALU_DEP_1)
	v_cmp_ne_u32_e64 s2, 0x7f800000, v2
                                        ; implicit-def: $vgpr2
	s_and_saveexec_b32 s3, s2
	s_delay_alu instid0(SALU_CYCLE_1)
	s_xor_b32 s2, exec_lo, s3
; %bb.499:
	v_bfe_u32 v2, v7, 16, 1
	s_delay_alu instid0(VALU_DEP_1)
	v_add3_u32 v2, v7, v2, 0x7fff
                                        ; implicit-def: $vgpr7
; %bb.500:
	s_and_not1_saveexec_b32 s3, s2
; %bb.501:
	v_and_b32_e32 v2, 0xffff, v7
	v_or_b32_e32 v8, 0x10000, v7
	s_delay_alu instid0(VALU_DEP_2) | instskip(NEXT) | instid1(VALU_DEP_1)
	v_cmp_eq_u32_e64 s2, 0, v2
	v_cndmask_b32_e64 v2, v8, v7, s2
; %bb.502:
	s_or_b32 exec_lo, exec_lo, s3
	v_and_b32_e32 v1, 0xffff0000, v1
	v_and_b32_e32 v3, 0xffff0000, v3
	s_delay_alu instid0(VALU_DEP_1) | instskip(NEXT) | instid1(VALU_DEP_1)
	v_fmac_f32_e32 v1, v3, v68
	v_and_b32_e32 v3, 0x7f800000, v1
	s_delay_alu instid0(VALU_DEP_1) | instskip(NEXT) | instid1(VALU_DEP_1)
	v_cmp_ne_u32_e64 s2, 0x7f800000, v3
                                        ; implicit-def: $vgpr3
	s_and_saveexec_b32 s3, s2
	s_delay_alu instid0(SALU_CYCLE_1)
	s_xor_b32 s2, exec_lo, s3
; %bb.503:
	v_bfe_u32 v3, v1, 16, 1
	s_delay_alu instid0(VALU_DEP_1)
	v_add3_u32 v3, v1, v3, 0x7fff
                                        ; implicit-def: $vgpr1
; %bb.504:
	s_and_not1_saveexec_b32 s3, s2
; %bb.505:
	v_and_b32_e32 v3, 0xffff, v1
	v_or_b32_e32 v7, 0x10000, v1
	s_delay_alu instid0(VALU_DEP_2) | instskip(NEXT) | instid1(VALU_DEP_1)
	v_cmp_eq_u32_e64 s2, 0, v3
	v_cndmask_b32_e64 v3, v7, v1, s2
; %bb.506:
	s_or_b32 exec_lo, exec_lo, s3
	v_and_b32_e32 v2, 0xffff0000, v2
	v_lshlrev_b32_e32 v1, 16, v4
	s_delay_alu instid0(VALU_DEP_1) | instskip(NEXT) | instid1(VALU_DEP_1)
	v_fmac_f32_e32 v2, v1, v66
	v_and_b32_e32 v1, 0x7f800000, v2
	s_delay_alu instid0(VALU_DEP_1) | instskip(NEXT) | instid1(VALU_DEP_1)
	v_cmp_ne_u32_e64 s2, 0x7f800000, v1
                                        ; implicit-def: $vgpr1
	s_and_saveexec_b32 s3, s2
	s_delay_alu instid0(SALU_CYCLE_1)
	s_xor_b32 s2, exec_lo, s3
; %bb.507:
	v_bfe_u32 v1, v2, 16, 1
	s_delay_alu instid0(VALU_DEP_1)
	v_add3_u32 v1, v2, v1, 0x7fff
                                        ; implicit-def: $vgpr2
; %bb.508:
	s_and_not1_saveexec_b32 s3, s2
; %bb.509:
	v_and_b32_e32 v1, 0xffff, v2
	v_or_b32_e32 v7, 0x10000, v2
	s_delay_alu instid0(VALU_DEP_2) | instskip(NEXT) | instid1(VALU_DEP_1)
	v_cmp_eq_u32_e64 s2, 0, v1
	v_cndmask_b32_e64 v1, v7, v2, s2
; %bb.510:
	s_or_b32 exec_lo, exec_lo, s3
	v_and_b32_e32 v3, 0xffff0000, v3
	v_and_b32_e32 v2, 0xffff0000, v4
	s_delay_alu instid0(VALU_DEP_1) | instskip(NEXT) | instid1(VALU_DEP_1)
	v_fmac_f32_e32 v3, v2, v67
	v_and_b32_e32 v2, 0x7f800000, v3
	s_delay_alu instid0(VALU_DEP_1) | instskip(NEXT) | instid1(VALU_DEP_1)
	v_cmp_ne_u32_e64 s2, 0x7f800000, v2
                                        ; implicit-def: $vgpr2
	s_and_saveexec_b32 s3, s2
	s_delay_alu instid0(SALU_CYCLE_1)
	s_xor_b32 s2, exec_lo, s3
; %bb.511:
	v_bfe_u32 v2, v3, 16, 1
	s_delay_alu instid0(VALU_DEP_1)
	v_add3_u32 v2, v3, v2, 0x7fff
                                        ; implicit-def: $vgpr3
; %bb.512:
	s_and_not1_saveexec_b32 s3, s2
; %bb.513:
	v_and_b32_e32 v2, 0xffff, v3
	v_or_b32_e32 v4, 0x10000, v3
	s_delay_alu instid0(VALU_DEP_2) | instskip(NEXT) | instid1(VALU_DEP_1)
	v_cmp_eq_u32_e64 s2, 0, v2
	v_cndmask_b32_e64 v2, v4, v3, s2
; %bb.514:
	s_or_b32 exec_lo, exec_lo, s3
	v_and_b32_e32 v4, 0xffff0000, v6
	v_and_b32_e32 v6, 0xffff0000, v10
	;; [unrolled: 1-line block ×7, first 2 shown]
	s_delay_alu instid0(VALU_DEP_4)
	v_dual_add_f32 v3, v3, v4 :: v_dual_add_f32 v4, v5, v6
	v_and_b32_e32 v5, 0xffff0000, v13
	v_and_b32_e32 v6, 0xffff0000, v14
	;; [unrolled: 1-line block ×6, first 2 shown]
	v_dual_add_f32 v5, v5, v6 :: v_dual_add_f32 v6, v7, v8
	v_dual_add_f32 v7, v9, v10 :: v_dual_and_b32 v8, 0xffff0000, v25
	v_and_b32_e32 v10, 0xffff0000, v29
	v_and_b32_e32 v9, 0xffff0000, v26
	;; [unrolled: 1-line block ×5, first 2 shown]
	s_delay_alu instid0(VALU_DEP_4) | instskip(NEXT) | instid1(VALU_DEP_4)
	v_dual_add_f32 v8, v8, v9 :: v_dual_and_b32 v15, 0xffff0000, v42
	v_dual_add_f32 v9, v10, v11 :: v_dual_and_b32 v10, 0xffff0000, v33
	v_and_b32_e32 v11, 0xffff0000, v34
	v_mbcnt_lo_u32_b32 v18, -1, 0
	s_delay_alu instid0(VALU_DEP_3) | instskip(SKIP_1) | instid1(VALU_DEP_4)
	v_dual_cndmask_b32 v9, 0, v9 :: v_dual_and_b32 v2, 0xffff0000, v2
	v_cndmask_b32_e32 v3, 0, v3, vcc_lo
	v_dual_add_f32 v10, v10, v11 :: v_dual_add_f32 v11, v12, v13
	v_dual_add_f32 v12, v14, v15 :: v_dual_and_b32 v15, 0xffff0000, v49
	v_xor_b32_e32 v20, 16, v18
	s_delay_alu instid0(VALU_DEP_3) | instskip(SKIP_1) | instid1(VALU_DEP_4)
	v_cndmask_b32_e32 v10, 0, v10, vcc_lo
	v_cndmask_b32_e32 v4, 0, v4, vcc_lo
	;; [unrolled: 1-line block ×3, first 2 shown]
	v_add_f32_e32 v15, v15, v16
	v_and_b32_e32 v19, 0xffff0000, v62
	v_cmp_gt_i32_e64 s2, 32, v20
	v_dual_cndmask_b32 v5, 0, v5 :: v_dual_cndmask_b32 v6, 0, v6
	s_delay_alu instid0(VALU_DEP_4) | instskip(SKIP_3) | instid1(VALU_DEP_4)
	v_dual_cndmask_b32 v15, 0, v15 :: v_dual_and_b32 v16, 0xffff0000, v61
	v_and_b32_e32 v13, 0xffff0000, v45
	v_dual_cndmask_b32 v7, 0, v7 :: v_dual_cndmask_b32 v8, 0, v8
	v_cndmask_b32_e32 v11, 0, v11, vcc_lo
	v_add_f32_e32 v16, v16, v19
	v_cndmask_b32_e64 v19, v18, v20, s2
	v_and_b32_e32 v20, 0xffff0000, v1
	s_mov_b32 s2, exec_lo
	s_delay_alu instid0(VALU_DEP_2)
	v_dual_cndmask_b32 v16, 0, v16 :: v_dual_lshlrev_b32 v1, 2, v19
	ds_bpermute_b32 v27, v1, v10
	ds_bpermute_b32 v19, v1, v16
	s_waitcnt lgkmcnt(1)
	v_dual_add_f32 v10, v10, v27 :: v_dual_and_b32 v21, 0xffff0000, v58
	v_and_b32_e32 v14, 0xffff0000, v46
	s_waitcnt lgkmcnt(0)
	s_delay_alu instid0(VALU_DEP_1) | instskip(SKIP_1) | instid1(VALU_DEP_2)
	v_dual_add_f32 v16, v16, v19 :: v_dual_add_f32 v13, v13, v14
	v_and_b32_e32 v14, 0xffff0000, v53
	v_cndmask_b32_e32 v13, 0, v13, vcc_lo
	s_delay_alu instid0(VALU_DEP_2) | instskip(NEXT) | instid1(VALU_DEP_1)
	v_add_f32_e32 v14, v14, v17
	v_cndmask_b32_e32 v14, 0, v14, vcc_lo
	ds_bpermute_b32 v24, v1, v13
	ds_bpermute_b32 v28, v1, v9
	;; [unrolled: 1-line block ×12, first 2 shown]
	s_waitcnt lgkmcnt(11)
	v_add_f32_e32 v13, v13, v24
	v_dual_add_f32 v2, v20, v2 :: v_dual_and_b32 v17, 0xffff0000, v57
	s_waitcnt lgkmcnt(7)
	v_dual_add_f32 v15, v15, v23 :: v_dual_add_f32 v14, v14, v22
	s_waitcnt lgkmcnt(5)
	v_dual_add_f32 v12, v12, v25 :: v_dual_add_f32 v5, v5, v32
	v_dual_add_f32 v17, v17, v21 :: v_dual_cndmask_b32 v20, 0, v2
	v_xor_b32_e32 v2, 8, v18
	s_waitcnt lgkmcnt(1)
	v_dual_add_f32 v7, v7, v30 :: v_dual_add_f32 v6, v6, v31
	s_delay_alu instid0(VALU_DEP_3)
	v_cndmask_b32_e32 v17, 0, v17, vcc_lo
	ds_bpermute_b32 v34, v1, v20
	v_cmp_gt_i32_e32 vcc_lo, 32, v2
	v_dual_add_f32 v9, v9, v28 :: v_dual_add_f32 v4, v4, v33
	v_add_f32_e32 v19, v3, v19
	ds_bpermute_b32 v21, v1, v17
	v_cndmask_b32_e32 v2, v18, v2, vcc_lo
	v_xor_b32_e32 v3, 4, v18
	s_waitcnt lgkmcnt(2)
	v_dual_add_f32 v11, v11, v26 :: v_dual_add_f32 v8, v8, v29
	s_delay_alu instid0(VALU_DEP_2)
	v_cmp_gt_i32_e32 vcc_lo, 32, v3
	s_waitcnt lgkmcnt(1)
	v_dual_cndmask_b32 v3, v18, v3 :: v_dual_add_f32 v20, v20, v34
	s_waitcnt lgkmcnt(0)
	v_dual_add_f32 v17, v17, v21 :: v_dual_lshlrev_b32 v2, 2, v2
	ds_bpermute_b32 v21, v2, v16
	ds_bpermute_b32 v22, v2, v17
	;; [unrolled: 1-line block ×8, first 2 shown]
	v_lshlrev_b32_e32 v3, 2, v3
	ds_bpermute_b32 v27, v2, v11
	ds_bpermute_b32 v31, v2, v5
	ds_bpermute_b32 v33, v2, v19
	ds_bpermute_b32 v29, v2, v9
	ds_bpermute_b32 v30, v2, v6
	s_waitcnt lgkmcnt(11)
	v_dual_add_f32 v16, v16, v21 :: v_dual_add_f32 v17, v17, v22
	ds_bpermute_b32 v22, v2, v7
	ds_bpermute_b32 v21, v2, v8
	s_waitcnt lgkmcnt(11)
	v_dual_add_f32 v14, v14, v23 :: v_dual_add_f32 v15, v15, v24
	s_waitcnt lgkmcnt(8)
	v_dual_add_f32 v13, v13, v25 :: v_dual_add_f32 v12, v12, v26
	ds_bpermute_b32 v23, v2, v20
	v_add_f32_e32 v10, v10, v28
	ds_bpermute_b32 v24, v3, v16
	ds_bpermute_b32 v25, v3, v17
	s_waitcnt lgkmcnt(9)
	v_dual_add_f32 v4, v4, v32 :: v_dual_add_f32 v11, v11, v27
	ds_bpermute_b32 v26, v3, v14
	s_waitcnt lgkmcnt(9)
	v_add_f32_e32 v27, v5, v31
	s_waitcnt lgkmcnt(8)
	v_add_f32_e32 v19, v19, v33
	ds_bpermute_b32 v5, v3, v12
	s_waitcnt lgkmcnt(7)
	v_dual_add_f32 v9, v9, v29 :: v_dual_add_f32 v6, v6, v30
	ds_bpermute_b32 v29, v3, v10
	s_waitcnt lgkmcnt(7)
	v_add_f32_e32 v7, v7, v22
	ds_bpermute_b32 v22, v3, v13
	s_waitcnt lgkmcnt(7)
	v_add_f32_e32 v8, v8, v21
	ds_bpermute_b32 v21, v3, v15
	ds_bpermute_b32 v28, v3, v11
	;; [unrolled: 1-line block ×3, first 2 shown]
	s_waitcnt lgkmcnt(9)
	v_add_f32_e32 v20, v20, v23
	ds_bpermute_b32 v23, v3, v8
	s_waitcnt lgkmcnt(9)
	v_add_f32_e32 v16, v16, v24
	ds_bpermute_b32 v24, v3, v4
	ds_bpermute_b32 v33, v3, v27
	s_waitcnt lgkmcnt(9)
	v_dual_add_f32 v17, v17, v25 :: v_dual_add_f32 v14, v14, v26
	v_xor_b32_e32 v25, 2, v18
	ds_bpermute_b32 v31, v3, v7
	s_waitcnt lgkmcnt(9)
	v_add_f32_e32 v12, v12, v5
	ds_bpermute_b32 v32, v3, v6
	v_cmp_gt_i32_e32 vcc_lo, 32, v25
	s_waitcnt lgkmcnt(8)
	v_dual_add_f32 v10, v10, v29 :: v_dual_add_f32 v13, v13, v22
	ds_bpermute_b32 v22, v3, v20
	v_cndmask_b32_e32 v25, v18, v25, vcc_lo
	s_waitcnt lgkmcnt(8)
	v_add_f32_e32 v15, v15, v21
	ds_bpermute_b32 v21, v3, v19
	s_waitcnt lgkmcnt(6)
	v_dual_add_f32 v11, v11, v28 :: v_dual_add_f32 v8, v8, v23
	s_waitcnt lgkmcnt(5)
	v_dual_add_f32 v9, v9, v30 :: v_dual_add_f32 v4, v4, v24
	s_waitcnt lgkmcnt(2)
	v_dual_add_f32 v6, v6, v32 :: v_dual_lshlrev_b32 v5, 2, v25
	s_waitcnt lgkmcnt(1)
	v_add_f32_e32 v20, v20, v22
	ds_bpermute_b32 v24, v5, v13
	v_add_f32_e32 v23, v27, v33
	ds_bpermute_b32 v27, v5, v14
	ds_bpermute_b32 v26, v5, v17
	;; [unrolled: 1-line block ×5, first 2 shown]
	v_add_f32_e32 v7, v7, v31
	ds_bpermute_b32 v25, v5, v16
	ds_bpermute_b32 v29, v5, v12
	ds_bpermute_b32 v30, v5, v11
	ds_bpermute_b32 v36, v5, v9
	ds_bpermute_b32 v39, v5, v6
	ds_bpermute_b32 v41, v5, v4
	ds_bpermute_b32 v43, v5, v20
	s_waitcnt lgkmcnt(12)
	v_add_f32_e32 v22, v13, v24
	ds_bpermute_b32 v40, v5, v23
	s_waitcnt lgkmcnt(12)
	v_add_f32_e32 v33, v14, v27
	v_xor_b32_e32 v14, 1, v18
	s_waitcnt lgkmcnt(11)
	v_add_f32_e32 v32, v17, v26
	ds_bpermute_b32 v38, v5, v7
	v_cmp_gt_i32_e32 vcc_lo, 32, v14
	v_add_f32_e32 v35, v19, v21
	s_waitcnt lgkmcnt(11)
	v_add_f32_e32 v21, v15, v28
	s_waitcnt lgkmcnt(10)
	;; [unrolled: 2-line block ×3, first 2 shown]
	v_dual_add_f32 v31, v16, v25 :: v_dual_add_f32 v16, v9, v36
	v_cndmask_b32_e32 v10, v18, v14, vcc_lo
	ds_bpermute_b32 v42, v5, v35
	v_add_f32_e32 v19, v12, v29
	v_dual_add_f32 v17, v11, v30 :: v_dual_add_f32 v14, v8, v37
	s_waitcnt lgkmcnt(5)
	v_add_f32_e32 v12, v6, v39
	v_lshlrev_b32_e32 v6, 2, v10
	s_waitcnt lgkmcnt(2)
	v_dual_add_f32 v10, v4, v41 :: v_dual_add_f32 v11, v23, v40
	v_add_f32_e32 v8, v20, v43
	v_lshrrev_b32_e32 v4, 5, v0
	s_waitcnt lgkmcnt(1)
	v_add_f32_e32 v13, v7, v38
	ds_bpermute_b32 v37, v6, v31
	ds_bpermute_b32 v38, v6, v32
	ds_bpermute_b32 v39, v6, v33
	ds_bpermute_b32 v36, v6, v21
	ds_bpermute_b32 v34, v6, v19
	ds_bpermute_b32 v30, v6, v17
	ds_bpermute_b32 v29, v6, v15
	ds_bpermute_b32 v28, v6, v16
	ds_bpermute_b32 v27, v6, v14
	s_waitcnt lgkmcnt(9)
	v_add_f32_e32 v9, v35, v42
	ds_bpermute_b32 v35, v6, v22
	ds_bpermute_b32 v26, v6, v13
	;; [unrolled: 1-line block ×7, first 2 shown]
	v_and_b32_e32 v7, 31, v0
	s_delay_alu instid0(VALU_DEP_1)
	v_cmpx_gt_u32_e32 16, v7
	s_cbranch_execz .LBB7_516
; %bb.515:
	s_waitcnt lgkmcnt(14)
	v_dual_add_f32 v31, v31, v37 :: v_dual_add_f32 v32, v32, v38
	v_cmp_eq_u32_e32 vcc_lo, 1, v7
	s_waitcnt lgkmcnt(8)
	v_dual_add_f32 v33, v33, v39 :: v_dual_add_f32 v16, v16, v28
	s_waitcnt lgkmcnt(7)
	v_dual_add_f32 v21, v21, v36 :: v_dual_add_f32 v14, v14, v27
	s_waitcnt lgkmcnt(6)
	v_dual_cndmask_b32 v31, v31, v32 :: v_dual_add_f32 v22, v22, v35
	v_cmp_eq_u32_e32 vcc_lo, 2, v7
	s_waitcnt lgkmcnt(4)
	v_dual_add_f32 v19, v19, v34 :: v_dual_add_f32 v12, v12, v25
	v_add_f32_e32 v17, v17, v30
	s_waitcnt lgkmcnt(0)
	v_dual_add_f32 v15, v15, v29 :: v_dual_add_f32 v8, v8, v18
	v_cndmask_b32_e32 v31, v31, v33, vcc_lo
	v_cmp_eq_u32_e32 vcc_lo, 3, v7
	v_dual_add_f32 v10, v10, v23 :: v_dual_add_f32 v13, v13, v26
	v_add_f32_e32 v11, v11, v24
	v_add_f32_e32 v9, v9, v20
	v_cndmask_b32_e32 v21, v31, v21, vcc_lo
	v_cmp_eq_u32_e32 vcc_lo, 4, v7
	s_delay_alu instid0(VALU_DEP_2) | instskip(SKIP_1) | instid1(VALU_DEP_2)
	v_cndmask_b32_e32 v21, v21, v22, vcc_lo
	v_cmp_eq_u32_e32 vcc_lo, 5, v7
	v_cndmask_b32_e32 v19, v21, v19, vcc_lo
	v_cmp_eq_u32_e32 vcc_lo, 6, v7
	s_delay_alu instid0(VALU_DEP_2) | instskip(SKIP_1) | instid1(VALU_DEP_2)
	v_cndmask_b32_e32 v17, v19, v17, vcc_lo
	v_cmp_eq_u32_e32 vcc_lo, 7, v7
	;; [unrolled: 5-line block ×5, first 2 shown]
	v_cndmask_b32_e32 v10, v11, v10, vcc_lo
	v_cmp_eq_u32_e32 vcc_lo, 14, v7
	v_lshlrev_b32_e32 v11, 2, v4
	s_delay_alu instid0(VALU_DEP_3) | instskip(SKIP_1) | instid1(VALU_DEP_3)
	v_cndmask_b32_e32 v9, v10, v9, vcc_lo
	v_cmp_eq_u32_e32 vcc_lo, 15, v7
	v_lshl_or_b32 v10, v7, 7, v11
	s_delay_alu instid0(VALU_DEP_3)
	v_cndmask_b32_e32 v8, v9, v8, vcc_lo
	ds_store_b32 v10, v8
.LBB7_516:
	s_or_b32 exec_lo, exec_lo, s2
	s_waitcnt lgkmcnt(0)
	s_barrier
	buffer_gl0_inv
	s_mov_b32 s2, exec_lo
	v_cmpx_gt_u32_e32 0x100, v0
	s_cbranch_execz .LBB7_529
; %bb.517:
	s_load_b32 s0, s[0:1], 0x2c
	v_and_b32_e32 v8, 15, v0
	v_mov_b32_e32 v0, 0
	s_waitcnt lgkmcnt(0)
	s_and_b32 s0, 0xffff, s0
	s_delay_alu instid0(SALU_CYCLE_1) | instskip(NEXT) | instid1(SALU_CYCLE_1)
	s_lshr_b32 s0, s0, 5
	v_cmp_gt_u32_e32 vcc_lo, s0, v8
	s_and_saveexec_b32 s0, vcc_lo
	s_cbranch_execz .LBB7_519
; %bb.518:
	v_lshlrev_b32_e32 v0, 2, v8
	s_delay_alu instid0(VALU_DEP_1)
	v_and_or_b32 v0, 0x1f80, v65, v0
	ds_load_b32 v0, v0
.LBB7_519:
	s_or_b32 exec_lo, exec_lo, s0
	s_waitcnt lgkmcnt(0)
	ds_bpermute_b32 v2, v2, v0
	v_cmp_eq_u32_e32 vcc_lo, 0, v7
	s_waitcnt lgkmcnt(0)
	v_add_f32_e32 v0, v0, v2
	ds_bpermute_b32 v2, v3, v0
	s_waitcnt lgkmcnt(0)
	v_add_f32_e32 v0, v0, v2
	ds_bpermute_b32 v2, v5, v0
	;; [unrolled: 3-line block ×4, first 2 shown]
	s_and_b32 exec_lo, exec_lo, vcc_lo
	s_cbranch_execz .LBB7_529
; %bb.520:
	v_and_b32_e32 v0, 0x7f800000, v2
	s_delay_alu instid0(VALU_DEP_1) | instskip(SKIP_1) | instid1(SALU_CYCLE_1)
	v_cmp_ne_u32_e32 vcc_lo, 0x7f800000, v0
                                        ; implicit-def: $vgpr0
	s_and_saveexec_b32 s0, vcc_lo
	s_xor_b32 s0, exec_lo, s0
; %bb.521:
	v_bfe_u32 v0, v2, 16, 1
	s_delay_alu instid0(VALU_DEP_1)
	v_add3_u32 v0, v2, v0, 0x7fff
                                        ; implicit-def: $vgpr2
; %bb.522:
	s_and_not1_saveexec_b32 s0, s0
; %bb.523:
	v_and_b32_e32 v0, 0xffff, v2
	v_or_b32_e32 v3, 0x10000, v2
	s_delay_alu instid0(VALU_DEP_2) | instskip(NEXT) | instid1(VALU_DEP_2)
	v_cmp_eq_u32_e32 vcc_lo, 0, v0
	v_cndmask_b32_e32 v0, v3, v2, vcc_lo
; %bb.524:
	s_or_b32 exec_lo, exec_lo, s0
	s_waitcnt lgkmcnt(0)
	v_and_b32_e32 v2, 0x7f800000, v1
	s_delay_alu instid0(VALU_DEP_1) | instskip(SKIP_1) | instid1(SALU_CYCLE_1)
	v_cmp_ne_u32_e32 vcc_lo, 0x7f800000, v2
                                        ; implicit-def: $vgpr2
	s_and_saveexec_b32 s0, vcc_lo
	s_xor_b32 s0, exec_lo, s0
; %bb.525:
	v_bfe_u32 v2, v1, 16, 1
	s_delay_alu instid0(VALU_DEP_1)
	v_add3_u32 v2, v1, v2, 0x7fff
                                        ; implicit-def: $vgpr1
; %bb.526:
	s_and_not1_saveexec_b32 s0, s0
; %bb.527:
	v_and_b32_e32 v2, 0xffff, v1
	v_or_b32_e32 v3, 0x10000, v1
	s_delay_alu instid0(VALU_DEP_2) | instskip(NEXT) | instid1(VALU_DEP_2)
	v_cmp_eq_u32_e32 vcc_lo, 0, v2
	v_cndmask_b32_e32 v2, v3, v1, vcc_lo
; %bb.528:
	s_or_b32 exec_lo, exec_lo, s0
	s_lshl_b32 s0, s15, 3
	v_mov_b32_e32 v5, 0
	v_and_or_b32 v4, 0x7ffffff8, s0, v4
	v_perm_b32 v0, v2, v0, 0x7060302
	s_delay_alu instid0(VALU_DEP_2) | instskip(NEXT) | instid1(VALU_DEP_1)
	v_lshlrev_b64 v[3:4], 2, v[4:5]
	v_add_co_u32 v3, vcc_lo, s8, v3
	s_delay_alu instid0(VALU_DEP_2)
	v_add_co_ci_u32_e32 v4, vcc_lo, s9, v4, vcc_lo
	global_store_b32 v[3:4], v0, off
.LBB7_529:
	s_nop 0
	s_sendmsg sendmsg(MSG_DEALLOC_VGPRS)
	s_endpgm
	.section	.rodata,"a",@progbits
	.p2align	6, 0x0
	.amdhsa_kernel _Z14LLGemm1_kernelIN3c108BFloat16ELi16EEvPKT_S4_PS2_i
		.amdhsa_group_segment_fixed_size 2048
		.amdhsa_private_segment_fixed_size 0
		.amdhsa_kernarg_size 288
		.amdhsa_user_sgpr_count 15
		.amdhsa_user_sgpr_dispatch_ptr 0
		.amdhsa_user_sgpr_queue_ptr 0
		.amdhsa_user_sgpr_kernarg_segment_ptr 1
		.amdhsa_user_sgpr_dispatch_id 0
		.amdhsa_user_sgpr_private_segment_size 0
		.amdhsa_wavefront_size32 1
		.amdhsa_uses_dynamic_stack 0
		.amdhsa_enable_private_segment 0
		.amdhsa_system_sgpr_workgroup_id_x 1
		.amdhsa_system_sgpr_workgroup_id_y 0
		.amdhsa_system_sgpr_workgroup_id_z 0
		.amdhsa_system_sgpr_workgroup_info 0
		.amdhsa_system_vgpr_workitem_id 0
		.amdhsa_next_free_vgpr 77
		.amdhsa_next_free_sgpr 18
		.amdhsa_reserve_vcc 1
		.amdhsa_float_round_mode_32 0
		.amdhsa_float_round_mode_16_64 0
		.amdhsa_float_denorm_mode_32 3
		.amdhsa_float_denorm_mode_16_64 3
		.amdhsa_dx10_clamp 1
		.amdhsa_ieee_mode 1
		.amdhsa_fp16_overflow 0
		.amdhsa_workgroup_processor_mode 1
		.amdhsa_memory_ordered 1
		.amdhsa_forward_progress 0
		.amdhsa_shared_vgpr_count 0
		.amdhsa_exception_fp_ieee_invalid_op 0
		.amdhsa_exception_fp_denorm_src 0
		.amdhsa_exception_fp_ieee_div_zero 0
		.amdhsa_exception_fp_ieee_overflow 0
		.amdhsa_exception_fp_ieee_underflow 0
		.amdhsa_exception_fp_ieee_inexact 0
		.amdhsa_exception_int_div_zero 0
	.end_amdhsa_kernel
	.section	.text._Z14LLGemm1_kernelIN3c108BFloat16ELi16EEvPKT_S4_PS2_i,"axG",@progbits,_Z14LLGemm1_kernelIN3c108BFloat16ELi16EEvPKT_S4_PS2_i,comdat
.Lfunc_end7:
	.size	_Z14LLGemm1_kernelIN3c108BFloat16ELi16EEvPKT_S4_PS2_i, .Lfunc_end7-_Z14LLGemm1_kernelIN3c108BFloat16ELi16EEvPKT_S4_PS2_i
                                        ; -- End function
	.section	.AMDGPU.csdata,"",@progbits
; Kernel info:
; codeLenInByte = 19068
; NumSgprs: 20
; NumVgprs: 77
; ScratchSize: 0
; MemoryBound: 0
; FloatMode: 240
; IeeeMode: 1
; LDSByteSize: 2048 bytes/workgroup (compile time only)
; SGPRBlocks: 2
; VGPRBlocks: 9
; NumSGPRsForWavesPerEU: 20
; NumVGPRsForWavesPerEU: 77
; Occupancy: 16
; WaveLimiterHint : 0
; COMPUTE_PGM_RSRC2:SCRATCH_EN: 0
; COMPUTE_PGM_RSRC2:USER_SGPR: 15
; COMPUTE_PGM_RSRC2:TRAP_HANDLER: 0
; COMPUTE_PGM_RSRC2:TGID_X_EN: 1
; COMPUTE_PGM_RSRC2:TGID_Y_EN: 0
; COMPUTE_PGM_RSRC2:TGID_Z_EN: 0
; COMPUTE_PGM_RSRC2:TIDIG_COMP_CNT: 0
	.text
	.p2align	2                               ; -- Begin function __ockl_fprintf_append_string_n
	.type	__ockl_fprintf_append_string_n,@function
__ockl_fprintf_append_string_n:         ; @__ockl_fprintf_append_string_n
; %bb.0:
	s_waitcnt vmcnt(0) expcnt(0) lgkmcnt(0)
	v_dual_mov_b32 v8, v3 :: v_dual_mov_b32 v7, v2
	v_or_b32_e32 v2, 2, v0
	v_cmp_eq_u32_e32 vcc_lo, 0, v6
	v_mbcnt_lo_u32_b32 v33, -1, 0
	s_mov_b32 s11, 0
	s_mov_b32 s0, exec_lo
	v_cndmask_b32_e32 v0, v2, v0, vcc_lo
	v_cmpx_ne_u64_e32 0, v[7:8]
	s_xor_b32 s10, exec_lo, s0
	s_cbranch_execz .LBB8_86
; %bb.1:
	s_load_b64 s[2:3], s[8:9], 0x50
	v_dual_mov_b32 v11, 2 :: v_dual_and_b32 v6, 2, v0
	v_mov_b32_e32 v10, 0
	v_and_b32_e32 v0, -3, v0
	v_mov_b32_e32 v12, 1
	s_mov_b32 s12, 0
	s_branch .LBB8_3
.LBB8_2:                                ;   in Loop: Header=BB8_3 Depth=1
	s_or_b32 exec_lo, exec_lo, s1
	v_sub_co_u32 v4, vcc_lo, v4, v29
	v_sub_co_ci_u32_e32 v5, vcc_lo, v5, v30, vcc_lo
	v_add_co_u32 v7, s0, v7, v29
	s_delay_alu instid0(VALU_DEP_1) | instskip(NEXT) | instid1(VALU_DEP_3)
	v_add_co_ci_u32_e64 v8, s0, v8, v30, s0
	v_cmp_eq_u64_e32 vcc_lo, 0, v[4:5]
	s_or_b32 s12, vcc_lo, s12
	s_delay_alu instid0(SALU_CYCLE_1)
	s_and_not1_b32 exec_lo, exec_lo, s12
	s_cbranch_execz .LBB8_85
.LBB8_3:                                ; =>This Loop Header: Depth=1
                                        ;     Child Loop BB8_6 Depth 2
                                        ;     Child Loop BB8_14 Depth 2
	;; [unrolled: 1-line block ×11, first 2 shown]
	v_cmp_gt_u64_e32 vcc_lo, 56, v[4:5]
	s_mov_b32 s1, exec_lo
                                        ; implicit-def: $vgpr2_vgpr3
                                        ; implicit-def: $sgpr4
	v_dual_cndmask_b32 v30, 0, v5 :: v_dual_cndmask_b32 v29, 56, v4
	v_cmpx_gt_u64_e32 8, v[4:5]
	s_xor_b32 s1, exec_lo, s1
	s_cbranch_execz .LBB8_9
; %bb.4:                                ;   in Loop: Header=BB8_3 Depth=1
	s_waitcnt vmcnt(0)
	v_mov_b32_e32 v2, 0
	v_mov_b32_e32 v3, 0
	s_mov_b64 s[4:5], 0
	s_mov_b32 s6, exec_lo
	v_cmpx_ne_u64_e32 0, v[4:5]
	s_cbranch_execz .LBB8_8
; %bb.5:                                ;   in Loop: Header=BB8_3 Depth=1
	v_lshlrev_b64 v[13:14], 3, v[29:30]
	v_dual_mov_b32 v2, 0 :: v_dual_mov_b32 v15, v8
	v_dual_mov_b32 v3, 0 :: v_dual_mov_b32 v14, v7
	s_mov_b32 s7, 0
	.p2align	6
.LBB8_6:                                ;   Parent Loop BB8_3 Depth=1
                                        ; =>  This Inner Loop Header: Depth=2
	flat_load_u8 v9, v[14:15]
	v_mov_b32_e32 v17, s11
	v_add_co_u32 v14, vcc_lo, v14, 1
	v_add_co_ci_u32_e32 v15, vcc_lo, 0, v15, vcc_lo
	s_waitcnt vmcnt(0) lgkmcnt(0)
	v_and_b32_e32 v16, 0xffff, v9
	s_delay_alu instid0(VALU_DEP_1) | instskip(SKIP_3) | instid1(VALU_DEP_2)
	v_lshlrev_b64 v[16:17], s4, v[16:17]
	s_add_u32 s4, s4, 8
	s_addc_u32 s5, s5, 0
	v_cmp_eq_u32_e64 s0, s4, v13
	v_or_b32_e32 v3, v17, v3
	s_delay_alu instid0(VALU_DEP_3) | instskip(NEXT) | instid1(VALU_DEP_3)
	v_or_b32_e32 v2, v16, v2
	s_or_b32 s7, s0, s7
	s_delay_alu instid0(SALU_CYCLE_1)
	s_and_not1_b32 exec_lo, exec_lo, s7
	s_cbranch_execnz .LBB8_6
; %bb.7:                                ;   in Loop: Header=BB8_3 Depth=1
	s_or_b32 exec_lo, exec_lo, s7
.LBB8_8:                                ;   in Loop: Header=BB8_3 Depth=1
	s_delay_alu instid0(SALU_CYCLE_1)
	s_or_b32 exec_lo, exec_lo, s6
	s_mov_b32 s4, 0
.LBB8_9:                                ;   in Loop: Header=BB8_3 Depth=1
	s_or_saveexec_b32 s0, s1
	v_dual_mov_b32 v9, s4 :: v_dual_mov_b32 v26, v8
	v_mov_b32_e32 v25, v7
	s_xor_b32 exec_lo, exec_lo, s0
	s_cbranch_execz .LBB8_11
; %bb.10:                               ;   in Loop: Header=BB8_3 Depth=1
	s_waitcnt vmcnt(0)
	flat_load_b64 v[2:3], v[7:8]
	v_add_co_u32 v25, vcc_lo, v7, 8
	v_add_co_ci_u32_e32 v26, vcc_lo, 0, v8, vcc_lo
	s_waitcnt vmcnt(0) lgkmcnt(0)
	v_and_b32_e32 v9, 0xff, v3
	v_and_b32_e32 v13, 0xff00, v3
	;; [unrolled: 1-line block ×4, first 2 shown]
	v_or3_b32 v2, v2, 0, 0
	s_delay_alu instid0(VALU_DEP_4) | instskip(SKIP_1) | instid1(VALU_DEP_2)
	v_or_b32_e32 v13, v9, v13
	v_add_nc_u32_e32 v9, -8, v29
	v_or3_b32 v3, v13, v14, v3
.LBB8_11:                               ;   in Loop: Header=BB8_3 Depth=1
	s_or_b32 exec_lo, exec_lo, s0
                                        ; implicit-def: $vgpr13_vgpr14
                                        ; implicit-def: $sgpr1
	s_delay_alu instid0(SALU_CYCLE_1) | instskip(NEXT) | instid1(VALU_DEP_2)
	s_mov_b32 s0, exec_lo
	v_cmpx_gt_u32_e32 8, v9
	s_xor_b32 s6, exec_lo, s0
	s_cbranch_execz .LBB8_17
; %bb.12:                               ;   in Loop: Header=BB8_3 Depth=1
	v_mov_b32_e32 v13, 0
	v_mov_b32_e32 v14, 0
	s_mov_b32 s7, exec_lo
	v_cmpx_ne_u32_e32 0, v9
	s_cbranch_execz .LBB8_16
; %bb.13:                               ;   in Loop: Header=BB8_3 Depth=1
	v_mov_b32_e32 v13, 0
	v_mov_b32_e32 v14, 0
	s_mov_b64 s[0:1], 0
	s_mov_b32 s13, 0
	s_mov_b64 s[4:5], 0
	.p2align	6
.LBB8_14:                               ;   Parent Loop BB8_3 Depth=1
                                        ; =>  This Inner Loop Header: Depth=2
	s_delay_alu instid0(SALU_CYCLE_1)
	v_add_co_u32 v15, vcc_lo, v25, s4
	v_add_co_ci_u32_e32 v16, vcc_lo, s5, v26, vcc_lo
	s_add_u32 s4, s4, 1
	s_addc_u32 s5, s5, 0
	v_cmp_eq_u32_e32 vcc_lo, s4, v9
	flat_load_u8 v15, v[15:16]
	s_waitcnt vmcnt(0) lgkmcnt(0)
	v_dual_mov_b32 v16, s11 :: v_dual_and_b32 v15, 0xffff, v15
	s_delay_alu instid0(VALU_DEP_1) | instskip(SKIP_3) | instid1(VALU_DEP_1)
	v_lshlrev_b64 v[15:16], s0, v[15:16]
	s_add_u32 s0, s0, 8
	s_addc_u32 s1, s1, 0
	s_or_b32 s13, vcc_lo, s13
	v_or_b32_e32 v14, v16, v14
	s_delay_alu instid0(VALU_DEP_2)
	v_or_b32_e32 v13, v15, v13
	s_and_not1_b32 exec_lo, exec_lo, s13
	s_cbranch_execnz .LBB8_14
; %bb.15:                               ;   in Loop: Header=BB8_3 Depth=1
	s_or_b32 exec_lo, exec_lo, s13
.LBB8_16:                               ;   in Loop: Header=BB8_3 Depth=1
	s_delay_alu instid0(SALU_CYCLE_1)
	s_or_b32 exec_lo, exec_lo, s7
	s_mov_b32 s1, 0
                                        ; implicit-def: $vgpr9
.LBB8_17:                               ;   in Loop: Header=BB8_3 Depth=1
	s_or_saveexec_b32 s0, s6
	v_mov_b32_e32 v17, s1
	s_xor_b32 exec_lo, exec_lo, s0
	s_cbranch_execz .LBB8_19
; %bb.18:                               ;   in Loop: Header=BB8_3 Depth=1
	flat_load_b64 v[13:14], v[25:26]
	v_add_co_u32 v25, vcc_lo, v25, 8
	v_add_nc_u32_e32 v17, -8, v9
	v_add_co_ci_u32_e32 v26, vcc_lo, 0, v26, vcc_lo
	s_waitcnt vmcnt(0) lgkmcnt(0)
	v_and_b32_e32 v15, 0xff, v14
	v_and_b32_e32 v16, 0xff00, v14
	;; [unrolled: 1-line block ×4, first 2 shown]
	v_or3_b32 v13, v13, 0, 0
	s_delay_alu instid0(VALU_DEP_4) | instskip(NEXT) | instid1(VALU_DEP_1)
	v_or_b32_e32 v15, v15, v16
	v_or3_b32 v14, v15, v18, v14
.LBB8_19:                               ;   in Loop: Header=BB8_3 Depth=1
	s_or_b32 exec_lo, exec_lo, s0
                                        ; implicit-def: $sgpr1
	s_delay_alu instid0(SALU_CYCLE_1)
	s_mov_b32 s0, exec_lo
	v_cmpx_gt_u32_e32 8, v17
	s_xor_b32 s6, exec_lo, s0
	s_cbranch_execz .LBB8_25
; %bb.20:                               ;   in Loop: Header=BB8_3 Depth=1
	v_mov_b32_e32 v15, 0
	v_mov_b32_e32 v16, 0
	s_mov_b32 s7, exec_lo
	v_cmpx_ne_u32_e32 0, v17
	s_cbranch_execz .LBB8_24
; %bb.21:                               ;   in Loop: Header=BB8_3 Depth=1
	v_mov_b32_e32 v15, 0
	v_mov_b32_e32 v16, 0
	s_mov_b64 s[0:1], 0
	s_mov_b32 s13, 0
	s_mov_b64 s[4:5], 0
	.p2align	6
.LBB8_22:                               ;   Parent Loop BB8_3 Depth=1
                                        ; =>  This Inner Loop Header: Depth=2
	s_delay_alu instid0(SALU_CYCLE_1)
	v_add_co_u32 v18, vcc_lo, v25, s4
	v_add_co_ci_u32_e32 v19, vcc_lo, s5, v26, vcc_lo
	s_add_u32 s4, s4, 1
	s_addc_u32 s5, s5, 0
	v_cmp_eq_u32_e32 vcc_lo, s4, v17
	flat_load_u8 v9, v[18:19]
	s_waitcnt vmcnt(0) lgkmcnt(0)
	v_dual_mov_b32 v19, s11 :: v_dual_and_b32 v18, 0xffff, v9
	s_delay_alu instid0(VALU_DEP_1) | instskip(SKIP_3) | instid1(VALU_DEP_1)
	v_lshlrev_b64 v[18:19], s0, v[18:19]
	s_add_u32 s0, s0, 8
	s_addc_u32 s1, s1, 0
	s_or_b32 s13, vcc_lo, s13
	v_or_b32_e32 v16, v19, v16
	s_delay_alu instid0(VALU_DEP_2)
	v_or_b32_e32 v15, v18, v15
	s_and_not1_b32 exec_lo, exec_lo, s13
	s_cbranch_execnz .LBB8_22
; %bb.23:                               ;   in Loop: Header=BB8_3 Depth=1
	s_or_b32 exec_lo, exec_lo, s13
.LBB8_24:                               ;   in Loop: Header=BB8_3 Depth=1
	s_delay_alu instid0(SALU_CYCLE_1)
	s_or_b32 exec_lo, exec_lo, s7
	s_mov_b32 s1, 0
                                        ; implicit-def: $vgpr17
.LBB8_25:                               ;   in Loop: Header=BB8_3 Depth=1
	s_or_saveexec_b32 s0, s6
	v_mov_b32_e32 v9, s1
	s_xor_b32 exec_lo, exec_lo, s0
	s_cbranch_execz .LBB8_27
; %bb.26:                               ;   in Loop: Header=BB8_3 Depth=1
	flat_load_b64 v[15:16], v[25:26]
	v_add_co_u32 v25, vcc_lo, v25, 8
	v_add_co_ci_u32_e32 v26, vcc_lo, 0, v26, vcc_lo
	s_waitcnt vmcnt(0) lgkmcnt(0)
	v_and_b32_e32 v9, 0xff, v16
	v_and_b32_e32 v18, 0xff00, v16
	;; [unrolled: 1-line block ×4, first 2 shown]
	v_or3_b32 v15, v15, 0, 0
	s_delay_alu instid0(VALU_DEP_4) | instskip(SKIP_1) | instid1(VALU_DEP_2)
	v_or_b32_e32 v18, v9, v18
	v_add_nc_u32_e32 v9, -8, v17
	v_or3_b32 v16, v18, v19, v16
.LBB8_27:                               ;   in Loop: Header=BB8_3 Depth=1
	s_or_b32 exec_lo, exec_lo, s0
                                        ; implicit-def: $vgpr17_vgpr18
                                        ; implicit-def: $sgpr1
	s_delay_alu instid0(SALU_CYCLE_1) | instskip(NEXT) | instid1(VALU_DEP_1)
	s_mov_b32 s0, exec_lo
	v_cmpx_gt_u32_e32 8, v9
	s_xor_b32 s6, exec_lo, s0
	s_cbranch_execz .LBB8_33
; %bb.28:                               ;   in Loop: Header=BB8_3 Depth=1
	v_mov_b32_e32 v17, 0
	v_mov_b32_e32 v18, 0
	s_mov_b32 s7, exec_lo
	v_cmpx_ne_u32_e32 0, v9
	s_cbranch_execz .LBB8_32
; %bb.29:                               ;   in Loop: Header=BB8_3 Depth=1
	v_mov_b32_e32 v17, 0
	v_mov_b32_e32 v18, 0
	s_mov_b64 s[0:1], 0
	s_mov_b32 s13, 0
	s_mov_b64 s[4:5], 0
	.p2align	6
.LBB8_30:                               ;   Parent Loop BB8_3 Depth=1
                                        ; =>  This Inner Loop Header: Depth=2
	s_delay_alu instid0(SALU_CYCLE_1)
	v_add_co_u32 v19, vcc_lo, v25, s4
	v_add_co_ci_u32_e32 v20, vcc_lo, s5, v26, vcc_lo
	s_add_u32 s4, s4, 1
	s_addc_u32 s5, s5, 0
	v_cmp_eq_u32_e32 vcc_lo, s4, v9
	flat_load_u8 v19, v[19:20]
	s_waitcnt vmcnt(0) lgkmcnt(0)
	v_dual_mov_b32 v20, s11 :: v_dual_and_b32 v19, 0xffff, v19
	s_delay_alu instid0(VALU_DEP_1) | instskip(SKIP_3) | instid1(VALU_DEP_1)
	v_lshlrev_b64 v[19:20], s0, v[19:20]
	s_add_u32 s0, s0, 8
	s_addc_u32 s1, s1, 0
	s_or_b32 s13, vcc_lo, s13
	v_or_b32_e32 v18, v20, v18
	s_delay_alu instid0(VALU_DEP_2)
	v_or_b32_e32 v17, v19, v17
	s_and_not1_b32 exec_lo, exec_lo, s13
	s_cbranch_execnz .LBB8_30
; %bb.31:                               ;   in Loop: Header=BB8_3 Depth=1
	s_or_b32 exec_lo, exec_lo, s13
.LBB8_32:                               ;   in Loop: Header=BB8_3 Depth=1
	s_delay_alu instid0(SALU_CYCLE_1)
	s_or_b32 exec_lo, exec_lo, s7
	s_mov_b32 s1, 0
                                        ; implicit-def: $vgpr9
.LBB8_33:                               ;   in Loop: Header=BB8_3 Depth=1
	s_or_saveexec_b32 s0, s6
	v_mov_b32_e32 v21, s1
	s_xor_b32 exec_lo, exec_lo, s0
	s_cbranch_execz .LBB8_35
; %bb.34:                               ;   in Loop: Header=BB8_3 Depth=1
	flat_load_b64 v[17:18], v[25:26]
	v_add_co_u32 v25, vcc_lo, v25, 8
	v_add_nc_u32_e32 v21, -8, v9
	v_add_co_ci_u32_e32 v26, vcc_lo, 0, v26, vcc_lo
	s_waitcnt vmcnt(0) lgkmcnt(0)
	v_and_b32_e32 v19, 0xff, v18
	v_and_b32_e32 v20, 0xff00, v18
	;; [unrolled: 1-line block ×4, first 2 shown]
	v_or3_b32 v17, v17, 0, 0
	s_delay_alu instid0(VALU_DEP_4) | instskip(NEXT) | instid1(VALU_DEP_1)
	v_or_b32_e32 v19, v19, v20
	v_or3_b32 v18, v19, v22, v18
.LBB8_35:                               ;   in Loop: Header=BB8_3 Depth=1
	s_or_b32 exec_lo, exec_lo, s0
                                        ; implicit-def: $sgpr1
	s_delay_alu instid0(SALU_CYCLE_1)
	s_mov_b32 s0, exec_lo
	v_cmpx_gt_u32_e32 8, v21
	s_xor_b32 s6, exec_lo, s0
	s_cbranch_execz .LBB8_41
; %bb.36:                               ;   in Loop: Header=BB8_3 Depth=1
	v_mov_b32_e32 v19, 0
	v_mov_b32_e32 v20, 0
	s_mov_b32 s7, exec_lo
	v_cmpx_ne_u32_e32 0, v21
	s_cbranch_execz .LBB8_40
; %bb.37:                               ;   in Loop: Header=BB8_3 Depth=1
	v_mov_b32_e32 v19, 0
	v_mov_b32_e32 v20, 0
	s_mov_b64 s[0:1], 0
	s_mov_b32 s13, 0
	s_mov_b64 s[4:5], 0
	.p2align	6
.LBB8_38:                               ;   Parent Loop BB8_3 Depth=1
                                        ; =>  This Inner Loop Header: Depth=2
	s_delay_alu instid0(SALU_CYCLE_1)
	v_add_co_u32 v22, vcc_lo, v25, s4
	v_add_co_ci_u32_e32 v23, vcc_lo, s5, v26, vcc_lo
	s_add_u32 s4, s4, 1
	s_addc_u32 s5, s5, 0
	v_cmp_eq_u32_e32 vcc_lo, s4, v21
	flat_load_u8 v9, v[22:23]
	s_waitcnt vmcnt(0) lgkmcnt(0)
	v_dual_mov_b32 v23, s11 :: v_dual_and_b32 v22, 0xffff, v9
	s_delay_alu instid0(VALU_DEP_1) | instskip(SKIP_3) | instid1(VALU_DEP_1)
	v_lshlrev_b64 v[22:23], s0, v[22:23]
	s_add_u32 s0, s0, 8
	s_addc_u32 s1, s1, 0
	s_or_b32 s13, vcc_lo, s13
	v_or_b32_e32 v20, v23, v20
	s_delay_alu instid0(VALU_DEP_2)
	v_or_b32_e32 v19, v22, v19
	s_and_not1_b32 exec_lo, exec_lo, s13
	s_cbranch_execnz .LBB8_38
; %bb.39:                               ;   in Loop: Header=BB8_3 Depth=1
	s_or_b32 exec_lo, exec_lo, s13
.LBB8_40:                               ;   in Loop: Header=BB8_3 Depth=1
	s_delay_alu instid0(SALU_CYCLE_1)
	s_or_b32 exec_lo, exec_lo, s7
	s_mov_b32 s1, 0
                                        ; implicit-def: $vgpr21
.LBB8_41:                               ;   in Loop: Header=BB8_3 Depth=1
	s_or_saveexec_b32 s0, s6
	v_mov_b32_e32 v9, s1
	s_xor_b32 exec_lo, exec_lo, s0
	s_cbranch_execz .LBB8_43
; %bb.42:                               ;   in Loop: Header=BB8_3 Depth=1
	flat_load_b64 v[19:20], v[25:26]
	v_add_co_u32 v25, vcc_lo, v25, 8
	v_add_co_ci_u32_e32 v26, vcc_lo, 0, v26, vcc_lo
	s_waitcnt vmcnt(0) lgkmcnt(0)
	v_and_b32_e32 v9, 0xff, v20
	v_and_b32_e32 v22, 0xff00, v20
	;; [unrolled: 1-line block ×4, first 2 shown]
	v_or3_b32 v19, v19, 0, 0
	s_delay_alu instid0(VALU_DEP_4) | instskip(SKIP_1) | instid1(VALU_DEP_2)
	v_or_b32_e32 v22, v9, v22
	v_add_nc_u32_e32 v9, -8, v21
	v_or3_b32 v20, v22, v23, v20
.LBB8_43:                               ;   in Loop: Header=BB8_3 Depth=1
	s_or_b32 exec_lo, exec_lo, s0
                                        ; implicit-def: $vgpr21_vgpr22
                                        ; implicit-def: $sgpr1
	s_delay_alu instid0(SALU_CYCLE_1) | instskip(NEXT) | instid1(VALU_DEP_1)
	s_mov_b32 s0, exec_lo
	v_cmpx_gt_u32_e32 8, v9
	s_xor_b32 s6, exec_lo, s0
	s_cbranch_execz .LBB8_49
; %bb.44:                               ;   in Loop: Header=BB8_3 Depth=1
	v_mov_b32_e32 v21, 0
	v_mov_b32_e32 v22, 0
	s_mov_b32 s7, exec_lo
	v_cmpx_ne_u32_e32 0, v9
	s_cbranch_execz .LBB8_48
; %bb.45:                               ;   in Loop: Header=BB8_3 Depth=1
	v_mov_b32_e32 v21, 0
	v_mov_b32_e32 v22, 0
	s_mov_b64 s[0:1], 0
	s_mov_b32 s13, 0
	s_mov_b64 s[4:5], 0
	.p2align	6
.LBB8_46:                               ;   Parent Loop BB8_3 Depth=1
                                        ; =>  This Inner Loop Header: Depth=2
	s_delay_alu instid0(SALU_CYCLE_1)
	v_add_co_u32 v23, vcc_lo, v25, s4
	v_add_co_ci_u32_e32 v24, vcc_lo, s5, v26, vcc_lo
	s_add_u32 s4, s4, 1
	s_addc_u32 s5, s5, 0
	v_cmp_eq_u32_e32 vcc_lo, s4, v9
	flat_load_u8 v23, v[23:24]
	s_waitcnt vmcnt(0) lgkmcnt(0)
	v_dual_mov_b32 v24, s11 :: v_dual_and_b32 v23, 0xffff, v23
	s_delay_alu instid0(VALU_DEP_1) | instskip(SKIP_3) | instid1(VALU_DEP_1)
	v_lshlrev_b64 v[23:24], s0, v[23:24]
	s_add_u32 s0, s0, 8
	s_addc_u32 s1, s1, 0
	s_or_b32 s13, vcc_lo, s13
	v_or_b32_e32 v22, v24, v22
	s_delay_alu instid0(VALU_DEP_2)
	v_or_b32_e32 v21, v23, v21
	s_and_not1_b32 exec_lo, exec_lo, s13
	s_cbranch_execnz .LBB8_46
; %bb.47:                               ;   in Loop: Header=BB8_3 Depth=1
	s_or_b32 exec_lo, exec_lo, s13
.LBB8_48:                               ;   in Loop: Header=BB8_3 Depth=1
	s_delay_alu instid0(SALU_CYCLE_1)
	s_or_b32 exec_lo, exec_lo, s7
	s_mov_b32 s1, 0
                                        ; implicit-def: $vgpr9
.LBB8_49:                               ;   in Loop: Header=BB8_3 Depth=1
	s_or_saveexec_b32 s0, s6
	v_mov_b32_e32 v27, s1
	s_xor_b32 exec_lo, exec_lo, s0
	s_cbranch_execz .LBB8_51
; %bb.50:                               ;   in Loop: Header=BB8_3 Depth=1
	flat_load_b64 v[21:22], v[25:26]
	v_add_co_u32 v25, vcc_lo, v25, 8
	v_add_nc_u32_e32 v27, -8, v9
	v_add_co_ci_u32_e32 v26, vcc_lo, 0, v26, vcc_lo
	s_waitcnt vmcnt(0) lgkmcnt(0)
	v_and_b32_e32 v23, 0xff, v22
	v_and_b32_e32 v24, 0xff00, v22
	;; [unrolled: 1-line block ×4, first 2 shown]
	v_or3_b32 v21, v21, 0, 0
	s_delay_alu instid0(VALU_DEP_4) | instskip(NEXT) | instid1(VALU_DEP_1)
	v_or_b32_e32 v23, v23, v24
	v_or3_b32 v22, v23, v28, v22
.LBB8_51:                               ;   in Loop: Header=BB8_3 Depth=1
	s_or_b32 exec_lo, exec_lo, s0
	s_delay_alu instid0(SALU_CYCLE_1)
	s_mov_b32 s0, exec_lo
	v_cmpx_gt_u32_e32 8, v27
	s_xor_b32 s4, exec_lo, s0
	s_cbranch_execz .LBB8_57
; %bb.52:                               ;   in Loop: Header=BB8_3 Depth=1
	v_mov_b32_e32 v23, 0
	v_mov_b32_e32 v24, 0
	s_mov_b32 s5, exec_lo
	v_cmpx_ne_u32_e32 0, v27
	s_cbranch_execz .LBB8_56
; %bb.53:                               ;   in Loop: Header=BB8_3 Depth=1
	v_mov_b32_e32 v23, 0
	v_mov_b32_e32 v24, 0
	s_mov_b64 s[0:1], 0
	s_mov_b32 s6, 0
	.p2align	6
.LBB8_54:                               ;   Parent Loop BB8_3 Depth=1
                                        ; =>  This Inner Loop Header: Depth=2
	flat_load_u8 v9, v[25:26]
	v_dual_mov_b32 v32, s11 :: v_dual_add_nc_u32 v27, -1, v27
	v_add_co_u32 v25, vcc_lo, v25, 1
	v_add_co_ci_u32_e32 v26, vcc_lo, 0, v26, vcc_lo
	s_delay_alu instid0(VALU_DEP_3) | instskip(SKIP_2) | instid1(VALU_DEP_1)
	v_cmp_eq_u32_e32 vcc_lo, 0, v27
	s_waitcnt vmcnt(0) lgkmcnt(0)
	v_and_b32_e32 v31, 0xffff, v9
	v_lshlrev_b64 v[31:32], s0, v[31:32]
	s_add_u32 s0, s0, 8
	s_addc_u32 s1, s1, 0
	s_or_b32 s6, vcc_lo, s6
	s_delay_alu instid0(VALU_DEP_1) | instskip(NEXT) | instid1(VALU_DEP_2)
	v_or_b32_e32 v24, v32, v24
	v_or_b32_e32 v23, v31, v23
	s_and_not1_b32 exec_lo, exec_lo, s6
	s_cbranch_execnz .LBB8_54
; %bb.55:                               ;   in Loop: Header=BB8_3 Depth=1
	s_or_b32 exec_lo, exec_lo, s6
.LBB8_56:                               ;   in Loop: Header=BB8_3 Depth=1
	s_delay_alu instid0(SALU_CYCLE_1)
	s_or_b32 exec_lo, exec_lo, s5
                                        ; implicit-def: $vgpr25_vgpr26
.LBB8_57:                               ;   in Loop: Header=BB8_3 Depth=1
	s_and_not1_saveexec_b32 s0, s4
	s_cbranch_execz .LBB8_59
; %bb.58:                               ;   in Loop: Header=BB8_3 Depth=1
	flat_load_b64 v[23:24], v[25:26]
	s_waitcnt vmcnt(0) lgkmcnt(0)
	v_and_b32_e32 v9, 0xff, v24
	v_and_b32_e32 v25, 0xff00, v24
	;; [unrolled: 1-line block ×4, first 2 shown]
	v_or3_b32 v23, v23, 0, 0
	s_delay_alu instid0(VALU_DEP_4) | instskip(NEXT) | instid1(VALU_DEP_1)
	v_or_b32_e32 v9, v9, v25
	v_or3_b32 v24, v9, v26, v24
.LBB8_59:                               ;   in Loop: Header=BB8_3 Depth=1
	s_or_b32 exec_lo, exec_lo, s0
	v_readfirstlane_b32 s0, v33
	v_mov_b32_e32 v31, 0
	v_mov_b32_e32 v32, 0
	s_delay_alu instid0(VALU_DEP_3) | instskip(NEXT) | instid1(VALU_DEP_1)
	v_cmp_eq_u32_e64 s0, s0, v33
	s_and_saveexec_b32 s1, s0
	s_cbranch_execz .LBB8_65
; %bb.60:                               ;   in Loop: Header=BB8_3 Depth=1
	s_waitcnt lgkmcnt(0)
	global_load_b64 v[27:28], v10, s[2:3] offset:24 glc
	s_waitcnt vmcnt(0)
	buffer_gl1_inv
	buffer_gl0_inv
	s_clause 0x1
	global_load_b64 v[25:26], v10, s[2:3] offset:40
	global_load_b64 v[31:32], v10, s[2:3]
	s_mov_b32 s4, exec_lo
	s_waitcnt vmcnt(1)
	v_and_b32_e32 v9, v26, v28
	v_and_b32_e32 v25, v25, v27
	s_delay_alu instid0(VALU_DEP_2) | instskip(NEXT) | instid1(VALU_DEP_2)
	v_mul_lo_u32 v9, v9, 24
	v_mul_hi_u32 v26, v25, 24
	v_mul_lo_u32 v25, v25, 24
	s_delay_alu instid0(VALU_DEP_2) | instskip(SKIP_1) | instid1(VALU_DEP_2)
	v_add_nc_u32_e32 v9, v26, v9
	s_waitcnt vmcnt(0)
	v_add_co_u32 v25, vcc_lo, v31, v25
	s_delay_alu instid0(VALU_DEP_2)
	v_add_co_ci_u32_e32 v26, vcc_lo, v32, v9, vcc_lo
	global_load_b64 v[25:26], v[25:26], off glc
	s_waitcnt vmcnt(0)
	global_atomic_cmpswap_b64 v[31:32], v10, v[25:28], s[2:3] offset:24 glc
	s_waitcnt vmcnt(0)
	buffer_gl1_inv
	buffer_gl0_inv
	v_cmpx_ne_u64_e64 v[31:32], v[27:28]
	s_cbranch_execz .LBB8_64
; %bb.61:                               ;   in Loop: Header=BB8_3 Depth=1
	s_mov_b32 s5, 0
	.p2align	6
.LBB8_62:                               ;   Parent Loop BB8_3 Depth=1
                                        ; =>  This Inner Loop Header: Depth=2
	s_sleep 1
	s_clause 0x1
	global_load_b64 v[25:26], v10, s[2:3] offset:40
	global_load_b64 v[34:35], v10, s[2:3]
	v_dual_mov_b32 v27, v31 :: v_dual_mov_b32 v28, v32
	s_waitcnt vmcnt(1)
	s_delay_alu instid0(VALU_DEP_1) | instskip(SKIP_1) | instid1(VALU_DEP_1)
	v_and_b32_e32 v9, v25, v27
	s_waitcnt vmcnt(0)
	v_mad_u64_u32 v[31:32], null, v9, 24, v[34:35]
	s_delay_alu instid0(VALU_DEP_1) | instskip(NEXT) | instid1(VALU_DEP_1)
	v_dual_mov_b32 v9, v32 :: v_dual_and_b32 v34, v26, v28
	v_mad_u64_u32 v[25:26], null, v34, 24, v[9:10]
	s_delay_alu instid0(VALU_DEP_1)
	v_mov_b32_e32 v32, v25
	global_load_b64 v[25:26], v[31:32], off glc
	s_waitcnt vmcnt(0)
	global_atomic_cmpswap_b64 v[31:32], v10, v[25:28], s[2:3] offset:24 glc
	s_waitcnt vmcnt(0)
	buffer_gl1_inv
	buffer_gl0_inv
	v_cmp_eq_u64_e32 vcc_lo, v[31:32], v[27:28]
	s_or_b32 s5, vcc_lo, s5
	s_delay_alu instid0(SALU_CYCLE_1)
	s_and_not1_b32 exec_lo, exec_lo, s5
	s_cbranch_execnz .LBB8_62
; %bb.63:                               ;   in Loop: Header=BB8_3 Depth=1
	s_or_b32 exec_lo, exec_lo, s5
.LBB8_64:                               ;   in Loop: Header=BB8_3 Depth=1
	s_delay_alu instid0(SALU_CYCLE_1)
	s_or_b32 exec_lo, exec_lo, s4
.LBB8_65:                               ;   in Loop: Header=BB8_3 Depth=1
	s_delay_alu instid0(SALU_CYCLE_1)
	s_or_b32 exec_lo, exec_lo, s1
	s_waitcnt lgkmcnt(0)
	s_clause 0x1
	global_load_b64 v[34:35], v10, s[2:3] offset:40
	global_load_b128 v[25:28], v10, s[2:3]
	v_readfirstlane_b32 s4, v31
	v_readfirstlane_b32 s5, v32
	s_mov_b32 s1, exec_lo
	s_waitcnt vmcnt(1)
	v_readfirstlane_b32 s6, v34
	v_readfirstlane_b32 s7, v35
	s_delay_alu instid0(VALU_DEP_1) | instskip(NEXT) | instid1(SALU_CYCLE_1)
	s_and_b64 s[6:7], s[4:5], s[6:7]
	s_mul_i32 s13, s7, 24
	s_mul_hi_u32 s14, s6, 24
	s_mul_i32 s15, s6, 24
	s_add_i32 s14, s14, s13
	s_waitcnt vmcnt(0)
	v_add_co_u32 v31, vcc_lo, v25, s15
	v_add_co_ci_u32_e32 v32, vcc_lo, s14, v26, vcc_lo
	s_and_saveexec_b32 s13, s0
	s_cbranch_execz .LBB8_67
; %bb.66:                               ;   in Loop: Header=BB8_3 Depth=1
	v_mov_b32_e32 v9, s1
	global_store_b128 v[31:32], v[9:12], off offset:8
.LBB8_67:                               ;   in Loop: Header=BB8_3 Depth=1
	s_or_b32 exec_lo, exec_lo, s13
	v_cmp_lt_u64_e32 vcc_lo, 56, v[4:5]
	v_or_b32_e32 v9, 0, v1
	v_or_b32_e32 v34, v0, v6
	v_lshl_add_u32 v35, v29, 2, 28
	s_lshl_b64 s[6:7], s[6:7], 12
	s_delay_alu instid0(SALU_CYCLE_1) | instskip(NEXT) | instid1(VALU_DEP_1)
	v_add_co_u32 v27, s1, v27, s6
	v_add_co_ci_u32_e64 v28, s1, s7, v28, s1
	v_dual_cndmask_b32 v1, v9, v1 :: v_dual_cndmask_b32 v0, v34, v0
	v_and_b32_e32 v9, 0x1e0, v35
	v_lshlrev_b32_e32 v34, 6, v33
	v_readfirstlane_b32 s6, v27
	v_readfirstlane_b32 s7, v28
	s_delay_alu instid0(VALU_DEP_4)
	v_and_or_b32 v0, 0xffffff1f, v0, v9
	s_clause 0x3
	global_store_b128 v34, v[0:3], s[6:7]
	global_store_b128 v34, v[13:16], s[6:7] offset:16
	global_store_b128 v34, v[17:20], s[6:7] offset:32
	;; [unrolled: 1-line block ×3, first 2 shown]
	s_and_saveexec_b32 s1, s0
	s_cbranch_execz .LBB8_75
; %bb.68:                               ;   in Loop: Header=BB8_3 Depth=1
	s_clause 0x1
	global_load_b64 v[17:18], v10, s[2:3] offset:32 glc
	global_load_b64 v[0:1], v10, s[2:3] offset:40
	v_dual_mov_b32 v15, s4 :: v_dual_mov_b32 v16, s5
	s_waitcnt vmcnt(0)
	v_readfirstlane_b32 s6, v0
	v_readfirstlane_b32 s7, v1
	s_delay_alu instid0(VALU_DEP_1) | instskip(NEXT) | instid1(SALU_CYCLE_1)
	s_and_b64 s[6:7], s[6:7], s[4:5]
	s_mul_i32 s7, s7, 24
	s_mul_hi_u32 s13, s6, 24
	s_mul_i32 s6, s6, 24
	s_add_i32 s13, s13, s7
	v_add_co_u32 v13, vcc_lo, v25, s6
	v_add_co_ci_u32_e32 v14, vcc_lo, s13, v26, vcc_lo
	s_mov_b32 s6, exec_lo
	global_store_b64 v[13:14], v[17:18], off
	s_waitcnt_vscnt null, 0x0
	global_atomic_cmpswap_b64 v[2:3], v10, v[15:18], s[2:3] offset:32 glc
	s_waitcnt vmcnt(0)
	v_cmpx_ne_u64_e64 v[2:3], v[17:18]
	s_cbranch_execz .LBB8_71
; %bb.69:                               ;   in Loop: Header=BB8_3 Depth=1
	s_mov_b32 s7, 0
.LBB8_70:                               ;   Parent Loop BB8_3 Depth=1
                                        ; =>  This Inner Loop Header: Depth=2
	v_dual_mov_b32 v0, s4 :: v_dual_mov_b32 v1, s5
	s_sleep 1
	global_store_b64 v[13:14], v[2:3], off
	s_waitcnt_vscnt null, 0x0
	global_atomic_cmpswap_b64 v[0:1], v10, v[0:3], s[2:3] offset:32 glc
	s_waitcnt vmcnt(0)
	v_cmp_eq_u64_e32 vcc_lo, v[0:1], v[2:3]
	v_dual_mov_b32 v3, v1 :: v_dual_mov_b32 v2, v0
	s_or_b32 s7, vcc_lo, s7
	s_delay_alu instid0(SALU_CYCLE_1)
	s_and_not1_b32 exec_lo, exec_lo, s7
	s_cbranch_execnz .LBB8_70
.LBB8_71:                               ;   in Loop: Header=BB8_3 Depth=1
	s_or_b32 exec_lo, exec_lo, s6
	global_load_b64 v[0:1], v10, s[2:3] offset:16
	s_mov_b32 s7, exec_lo
	s_mov_b32 s6, exec_lo
	v_mbcnt_lo_u32_b32 v2, s7, 0
	s_delay_alu instid0(VALU_DEP_1)
	v_cmpx_eq_u32_e32 0, v2
	s_cbranch_execz .LBB8_73
; %bb.72:                               ;   in Loop: Header=BB8_3 Depth=1
	s_bcnt1_i32_b32 s7, s7
	s_delay_alu instid0(SALU_CYCLE_1)
	v_mov_b32_e32 v9, s7
	s_waitcnt vmcnt(0)
	global_atomic_add_u64 v[0:1], v[9:10], off offset:8
.LBB8_73:                               ;   in Loop: Header=BB8_3 Depth=1
	s_or_b32 exec_lo, exec_lo, s6
	s_waitcnt vmcnt(0)
	global_load_b64 v[2:3], v[0:1], off offset:16
	s_waitcnt vmcnt(0)
	v_cmp_eq_u64_e32 vcc_lo, 0, v[2:3]
	s_cbranch_vccnz .LBB8_75
; %bb.74:                               ;   in Loop: Header=BB8_3 Depth=1
	global_load_b32 v9, v[0:1], off offset:24
	s_waitcnt vmcnt(0)
	v_and_b32_e32 v0, 0xffffff, v9
	s_waitcnt_vscnt null, 0x0
	global_store_b64 v[2:3], v[9:10], off
	v_readfirstlane_b32 m0, v0
	s_sendmsg sendmsg(MSG_INTERRUPT)
.LBB8_75:                               ;   in Loop: Header=BB8_3 Depth=1
	s_or_b32 exec_lo, exec_lo, s1
	v_add_co_u32 v0, vcc_lo, v27, v34
	v_add_co_ci_u32_e32 v1, vcc_lo, 0, v28, vcc_lo
	s_branch .LBB8_79
	.p2align	6
.LBB8_76:                               ;   in Loop: Header=BB8_79 Depth=2
	s_or_b32 exec_lo, exec_lo, s1
	s_delay_alu instid0(VALU_DEP_1) | instskip(NEXT) | instid1(VALU_DEP_1)
	v_readfirstlane_b32 s1, v2
	s_cmp_eq_u32 s1, 0
	s_cbranch_scc1 .LBB8_78
; %bb.77:                               ;   in Loop: Header=BB8_79 Depth=2
	s_sleep 1
	s_cbranch_execnz .LBB8_79
	s_branch .LBB8_81
	.p2align	6
.LBB8_78:                               ;   in Loop: Header=BB8_3 Depth=1
	s_branch .LBB8_81
.LBB8_79:                               ;   Parent Loop BB8_3 Depth=1
                                        ; =>  This Inner Loop Header: Depth=2
	v_mov_b32_e32 v2, 1
	s_and_saveexec_b32 s1, s0
	s_cbranch_execz .LBB8_76
; %bb.80:                               ;   in Loop: Header=BB8_79 Depth=2
	global_load_b32 v2, v[31:32], off offset:20 glc
	s_waitcnt vmcnt(0)
	buffer_gl1_inv
	buffer_gl0_inv
	v_and_b32_e32 v2, 1, v2
	s_branch .LBB8_76
.LBB8_81:                               ;   in Loop: Header=BB8_3 Depth=1
	global_load_b128 v[0:3], v[0:1], off
	s_and_saveexec_b32 s1, s0
	s_cbranch_execz .LBB8_2
; %bb.82:                               ;   in Loop: Header=BB8_3 Depth=1
	s_clause 0x2
	global_load_b64 v[2:3], v10, s[2:3] offset:40
	global_load_b64 v[17:18], v10, s[2:3] offset:24 glc
	global_load_b64 v[15:16], v10, s[2:3]
	s_waitcnt vmcnt(2)
	v_add_co_u32 v9, vcc_lo, v2, 1
	v_add_co_ci_u32_e32 v19, vcc_lo, 0, v3, vcc_lo
	s_delay_alu instid0(VALU_DEP_2) | instskip(NEXT) | instid1(VALU_DEP_2)
	v_add_co_u32 v13, vcc_lo, v9, s4
	v_add_co_ci_u32_e32 v14, vcc_lo, s5, v19, vcc_lo
	s_delay_alu instid0(VALU_DEP_1) | instskip(SKIP_1) | instid1(VALU_DEP_1)
	v_cmp_eq_u64_e32 vcc_lo, 0, v[13:14]
	v_dual_cndmask_b32 v14, v14, v19 :: v_dual_cndmask_b32 v13, v13, v9
	v_and_b32_e32 v3, v14, v3
	s_delay_alu instid0(VALU_DEP_2) | instskip(NEXT) | instid1(VALU_DEP_2)
	v_and_b32_e32 v2, v13, v2
	v_mul_lo_u32 v3, v3, 24
	s_delay_alu instid0(VALU_DEP_2) | instskip(SKIP_1) | instid1(VALU_DEP_2)
	v_mul_hi_u32 v9, v2, 24
	v_mul_lo_u32 v2, v2, 24
	v_add_nc_u32_e32 v3, v9, v3
	s_waitcnt vmcnt(0)
	s_delay_alu instid0(VALU_DEP_2) | instskip(SKIP_1) | instid1(VALU_DEP_3)
	v_add_co_u32 v2, vcc_lo, v15, v2
	v_mov_b32_e32 v15, v17
	v_add_co_ci_u32_e32 v3, vcc_lo, v16, v3, vcc_lo
	v_mov_b32_e32 v16, v18
	global_store_b64 v[2:3], v[17:18], off
	s_waitcnt_vscnt null, 0x0
	global_atomic_cmpswap_b64 v[15:16], v10, v[13:16], s[2:3] offset:24 glc
	s_waitcnt vmcnt(0)
	v_cmp_ne_u64_e32 vcc_lo, v[15:16], v[17:18]
	s_and_b32 exec_lo, exec_lo, vcc_lo
	s_cbranch_execz .LBB8_2
; %bb.83:                               ;   in Loop: Header=BB8_3 Depth=1
	s_mov_b32 s0, 0
.LBB8_84:                               ;   Parent Loop BB8_3 Depth=1
                                        ; =>  This Inner Loop Header: Depth=2
	s_sleep 1
	global_store_b64 v[2:3], v[15:16], off
	s_waitcnt_vscnt null, 0x0
	global_atomic_cmpswap_b64 v[17:18], v10, v[13:16], s[2:3] offset:24 glc
	s_waitcnt vmcnt(0)
	v_cmp_eq_u64_e32 vcc_lo, v[17:18], v[15:16]
	v_dual_mov_b32 v15, v17 :: v_dual_mov_b32 v16, v18
	s_or_b32 s0, vcc_lo, s0
	s_delay_alu instid0(SALU_CYCLE_1)
	s_and_not1_b32 exec_lo, exec_lo, s0
	s_cbranch_execnz .LBB8_84
	s_branch .LBB8_2
.LBB8_85:
	s_or_b32 exec_lo, exec_lo, s12
                                        ; implicit-def: $vgpr0
                                        ; implicit-def: $vgpr33
                                        ; implicit-def: $vgpr1
.LBB8_86:
	s_and_not1_saveexec_b32 s1, s10
	s_cbranch_execz .LBB8_108
; %bb.87:
	s_load_b64 s[2:3], s[8:9], 0x50
	v_readfirstlane_b32 s0, v33
	v_mov_b32_e32 v8, 0
	v_mov_b32_e32 v9, 0
	s_delay_alu instid0(VALU_DEP_3) | instskip(NEXT) | instid1(VALU_DEP_1)
	v_cmp_eq_u32_e64 s0, s0, v33
	s_and_saveexec_b32 s4, s0
	s_cbranch_execz .LBB8_93
; %bb.88:
	s_waitcnt vmcnt(0)
	v_mov_b32_e32 v2, 0
	s_mov_b32 s5, exec_lo
	s_waitcnt lgkmcnt(0)
	global_load_b64 v[5:6], v2, s[2:3] offset:24 glc
	s_waitcnt vmcnt(0)
	buffer_gl1_inv
	buffer_gl0_inv
	s_clause 0x1
	global_load_b64 v[3:4], v2, s[2:3] offset:40
	global_load_b64 v[7:8], v2, s[2:3]
	s_waitcnt vmcnt(1)
	v_and_b32_e32 v3, v3, v5
	v_and_b32_e32 v4, v4, v6
	s_delay_alu instid0(VALU_DEP_2) | instskip(NEXT) | instid1(VALU_DEP_2)
	v_mul_hi_u32 v9, v3, 24
	v_mul_lo_u32 v4, v4, 24
	v_mul_lo_u32 v3, v3, 24
	s_delay_alu instid0(VALU_DEP_2) | instskip(SKIP_1) | instid1(VALU_DEP_2)
	v_add_nc_u32_e32 v4, v9, v4
	s_waitcnt vmcnt(0)
	v_add_co_u32 v3, vcc_lo, v7, v3
	s_delay_alu instid0(VALU_DEP_2)
	v_add_co_ci_u32_e32 v4, vcc_lo, v8, v4, vcc_lo
	global_load_b64 v[3:4], v[3:4], off glc
	s_waitcnt vmcnt(0)
	global_atomic_cmpswap_b64 v[8:9], v2, v[3:6], s[2:3] offset:24 glc
	s_waitcnt vmcnt(0)
	buffer_gl1_inv
	buffer_gl0_inv
	v_cmpx_ne_u64_e64 v[8:9], v[5:6]
	s_cbranch_execz .LBB8_92
; %bb.89:
	s_mov_b32 s6, 0
	.p2align	6
.LBB8_90:                               ; =>This Inner Loop Header: Depth=1
	s_sleep 1
	s_clause 0x1
	global_load_b64 v[3:4], v2, s[2:3] offset:40
	global_load_b64 v[10:11], v2, s[2:3]
	v_dual_mov_b32 v5, v8 :: v_dual_mov_b32 v6, v9
	s_waitcnt vmcnt(1)
	s_delay_alu instid0(VALU_DEP_1) | instskip(NEXT) | instid1(VALU_DEP_2)
	v_and_b32_e32 v3, v3, v5
	v_and_b32_e32 v4, v4, v6
	s_waitcnt vmcnt(0)
	s_delay_alu instid0(VALU_DEP_2) | instskip(NEXT) | instid1(VALU_DEP_1)
	v_mad_u64_u32 v[7:8], null, v3, 24, v[10:11]
	v_mov_b32_e32 v3, v8
	s_delay_alu instid0(VALU_DEP_1)
	v_mad_u64_u32 v[8:9], null, v4, 24, v[3:4]
	global_load_b64 v[3:4], v[7:8], off glc
	s_waitcnt vmcnt(0)
	global_atomic_cmpswap_b64 v[8:9], v2, v[3:6], s[2:3] offset:24 glc
	s_waitcnt vmcnt(0)
	buffer_gl1_inv
	buffer_gl0_inv
	v_cmp_eq_u64_e32 vcc_lo, v[8:9], v[5:6]
	s_or_b32 s6, vcc_lo, s6
	s_delay_alu instid0(SALU_CYCLE_1)
	s_and_not1_b32 exec_lo, exec_lo, s6
	s_cbranch_execnz .LBB8_90
; %bb.91:
	s_or_b32 exec_lo, exec_lo, s6
.LBB8_92:
	s_delay_alu instid0(SALU_CYCLE_1)
	s_or_b32 exec_lo, exec_lo, s5
.LBB8_93:
	s_delay_alu instid0(SALU_CYCLE_1)
	s_or_b32 exec_lo, exec_lo, s4
	s_waitcnt vmcnt(0)
	v_mov_b32_e32 v2, 0
	v_readfirstlane_b32 s4, v8
	v_readfirstlane_b32 s5, v9
	s_mov_b32 s8, exec_lo
	s_waitcnt lgkmcnt(0)
	s_clause 0x1
	global_load_b64 v[10:11], v2, s[2:3] offset:40
	global_load_b128 v[4:7], v2, s[2:3]
	s_waitcnt vmcnt(1)
	v_readfirstlane_b32 s6, v10
	v_readfirstlane_b32 s7, v11
	s_delay_alu instid0(VALU_DEP_1) | instskip(NEXT) | instid1(SALU_CYCLE_1)
	s_and_b64 s[6:7], s[4:5], s[6:7]
	s_mul_i32 s9, s7, 24
	s_mul_hi_u32 s10, s6, 24
	s_mul_i32 s11, s6, 24
	s_add_i32 s10, s10, s9
	s_waitcnt vmcnt(0)
	v_add_co_u32 v8, vcc_lo, v4, s11
	v_add_co_ci_u32_e32 v9, vcc_lo, s10, v5, vcc_lo
	s_and_saveexec_b32 s9, s0
	s_cbranch_execz .LBB8_95
; %bb.94:
	v_dual_mov_b32 v10, s8 :: v_dual_mov_b32 v11, v2
	v_dual_mov_b32 v12, 2 :: v_dual_mov_b32 v13, 1
	global_store_b128 v[8:9], v[10:13], off offset:8
.LBB8_95:
	s_or_b32 exec_lo, exec_lo, s9
	s_lshl_b64 s[6:7], s[6:7], 12
	s_mov_b32 s8, 0
	v_add_co_u32 v6, vcc_lo, v6, s6
	v_add_co_ci_u32_e32 v7, vcc_lo, s7, v7, vcc_lo
	s_mov_b32 s11, s8
	s_mov_b32 s9, s8
	;; [unrolled: 1-line block ×3, first 2 shown]
	v_and_or_b32 v0, 0xffffff1f, v0, 32
	v_dual_mov_b32 v3, v2 :: v_dual_lshlrev_b32 v14, 6, v33
	v_readfirstlane_b32 s6, v6
	v_readfirstlane_b32 s7, v7
	v_dual_mov_b32 v13, s11 :: v_dual_mov_b32 v12, s10
	v_dual_mov_b32 v11, s9 :: v_dual_mov_b32 v10, s8
	s_clause 0x3
	global_store_b128 v14, v[0:3], s[6:7]
	global_store_b128 v14, v[10:13], s[6:7] offset:16
	global_store_b128 v14, v[10:13], s[6:7] offset:32
	;; [unrolled: 1-line block ×3, first 2 shown]
	s_and_saveexec_b32 s6, s0
	s_cbranch_execz .LBB8_102
; %bb.96:
	v_mov_b32_e32 v6, 0
	s_mov_b32 s7, exec_lo
	s_clause 0x1
	global_load_b64 v[12:13], v6, s[2:3] offset:32 glc
	global_load_b64 v[0:1], v6, s[2:3] offset:40
	v_dual_mov_b32 v11, s5 :: v_dual_mov_b32 v10, s4
	s_waitcnt vmcnt(0)
	v_and_b32_e32 v1, s5, v1
	v_and_b32_e32 v0, s4, v0
	s_delay_alu instid0(VALU_DEP_2) | instskip(NEXT) | instid1(VALU_DEP_2)
	v_mul_lo_u32 v1, v1, 24
	v_mul_hi_u32 v2, v0, 24
	v_mul_lo_u32 v0, v0, 24
	s_delay_alu instid0(VALU_DEP_2) | instskip(NEXT) | instid1(VALU_DEP_2)
	v_add_nc_u32_e32 v1, v2, v1
	v_add_co_u32 v4, vcc_lo, v4, v0
	s_delay_alu instid0(VALU_DEP_2)
	v_add_co_ci_u32_e32 v5, vcc_lo, v5, v1, vcc_lo
	global_store_b64 v[4:5], v[12:13], off
	s_waitcnt_vscnt null, 0x0
	global_atomic_cmpswap_b64 v[2:3], v6, v[10:13], s[2:3] offset:32 glc
	s_waitcnt vmcnt(0)
	v_cmpx_ne_u64_e64 v[2:3], v[12:13]
	s_cbranch_execz .LBB8_98
.LBB8_97:                               ; =>This Inner Loop Header: Depth=1
	v_dual_mov_b32 v0, s4 :: v_dual_mov_b32 v1, s5
	s_sleep 1
	global_store_b64 v[4:5], v[2:3], off
	s_waitcnt_vscnt null, 0x0
	global_atomic_cmpswap_b64 v[0:1], v6, v[0:3], s[2:3] offset:32 glc
	s_waitcnt vmcnt(0)
	v_cmp_eq_u64_e32 vcc_lo, v[0:1], v[2:3]
	v_dual_mov_b32 v3, v1 :: v_dual_mov_b32 v2, v0
	s_or_b32 s8, vcc_lo, s8
	s_delay_alu instid0(SALU_CYCLE_1)
	s_and_not1_b32 exec_lo, exec_lo, s8
	s_cbranch_execnz .LBB8_97
.LBB8_98:
	s_or_b32 exec_lo, exec_lo, s7
	v_mov_b32_e32 v3, 0
	s_mov_b32 s8, exec_lo
	s_mov_b32 s7, exec_lo
	v_mbcnt_lo_u32_b32 v2, s8, 0
	global_load_b64 v[0:1], v3, s[2:3] offset:16
	v_cmpx_eq_u32_e32 0, v2
	s_cbranch_execz .LBB8_100
; %bb.99:
	s_bcnt1_i32_b32 s8, s8
	s_delay_alu instid0(SALU_CYCLE_1)
	v_mov_b32_e32 v2, s8
	s_waitcnt vmcnt(0)
	global_atomic_add_u64 v[0:1], v[2:3], off offset:8
.LBB8_100:
	s_or_b32 exec_lo, exec_lo, s7
	s_waitcnt vmcnt(0)
	global_load_b64 v[2:3], v[0:1], off offset:16
	s_waitcnt vmcnt(0)
	v_cmp_eq_u64_e32 vcc_lo, 0, v[2:3]
	s_cbranch_vccnz .LBB8_102
; %bb.101:
	global_load_b32 v0, v[0:1], off offset:24
	s_waitcnt vmcnt(0)
	v_dual_mov_b32 v1, 0 :: v_dual_and_b32 v4, 0xffffff, v0
	s_waitcnt_vscnt null, 0x0
	global_store_b64 v[2:3], v[0:1], off
	v_readfirstlane_b32 m0, v4
	s_sendmsg sendmsg(MSG_INTERRUPT)
.LBB8_102:
	s_or_b32 exec_lo, exec_lo, s6
	s_branch .LBB8_106
	.p2align	6
.LBB8_103:                              ;   in Loop: Header=BB8_106 Depth=1
	s_or_b32 exec_lo, exec_lo, s6
	s_delay_alu instid0(VALU_DEP_1) | instskip(NEXT) | instid1(VALU_DEP_1)
	v_readfirstlane_b32 s6, v0
	s_cmp_eq_u32 s6, 0
	s_cbranch_scc1 .LBB8_105
; %bb.104:                              ;   in Loop: Header=BB8_106 Depth=1
	s_sleep 1
	s_cbranch_execnz .LBB8_106
	s_branch .LBB8_109
	.p2align	6
.LBB8_105:
	s_branch .LBB8_109
.LBB8_106:                              ; =>This Inner Loop Header: Depth=1
	v_mov_b32_e32 v0, 1
	s_and_saveexec_b32 s6, s0
	s_cbranch_execz .LBB8_103
; %bb.107:                              ;   in Loop: Header=BB8_106 Depth=1
	global_load_b32 v0, v[8:9], off offset:20 glc
	s_waitcnt vmcnt(0)
	buffer_gl1_inv
	buffer_gl0_inv
	v_and_b32_e32 v0, 1, v0
	s_branch .LBB8_103
.LBB8_108:
	s_or_b32 exec_lo, exec_lo, s1
	s_waitcnt vmcnt(0) lgkmcnt(0)
	s_setpc_b64 s[30:31]
.LBB8_109:
	s_and_saveexec_b32 s6, s0
	s_cbranch_execz .LBB8_113
; %bb.110:
	v_mov_b32_e32 v6, 0
	s_clause 0x2
	global_load_b64 v[2:3], v6, s[2:3] offset:40
	global_load_b64 v[7:8], v6, s[2:3] offset:24 glc
	global_load_b64 v[4:5], v6, s[2:3]
	s_waitcnt vmcnt(2)
	v_add_co_u32 v9, vcc_lo, v2, 1
	v_add_co_ci_u32_e32 v10, vcc_lo, 0, v3, vcc_lo
	s_delay_alu instid0(VALU_DEP_2) | instskip(NEXT) | instid1(VALU_DEP_2)
	v_add_co_u32 v0, vcc_lo, v9, s4
	v_add_co_ci_u32_e32 v1, vcc_lo, s5, v10, vcc_lo
	s_delay_alu instid0(VALU_DEP_1) | instskip(SKIP_1) | instid1(VALU_DEP_1)
	v_cmp_eq_u64_e32 vcc_lo, 0, v[0:1]
	v_dual_cndmask_b32 v1, v1, v10 :: v_dual_cndmask_b32 v0, v0, v9
	v_and_b32_e32 v3, v1, v3
	s_delay_alu instid0(VALU_DEP_2) | instskip(NEXT) | instid1(VALU_DEP_2)
	v_and_b32_e32 v2, v0, v2
	v_mul_lo_u32 v3, v3, 24
	s_delay_alu instid0(VALU_DEP_2) | instskip(SKIP_1) | instid1(VALU_DEP_2)
	v_mul_hi_u32 v9, v2, 24
	v_mul_lo_u32 v2, v2, 24
	v_add_nc_u32_e32 v3, v9, v3
	s_waitcnt vmcnt(0)
	s_delay_alu instid0(VALU_DEP_2) | instskip(SKIP_1) | instid1(VALU_DEP_3)
	v_add_co_u32 v4, vcc_lo, v4, v2
	v_mov_b32_e32 v2, v7
	v_add_co_ci_u32_e32 v5, vcc_lo, v5, v3, vcc_lo
	v_mov_b32_e32 v3, v8
	global_store_b64 v[4:5], v[7:8], off
	s_waitcnt_vscnt null, 0x0
	global_atomic_cmpswap_b64 v[2:3], v6, v[0:3], s[2:3] offset:24 glc
	s_waitcnt vmcnt(0)
	v_cmp_ne_u64_e32 vcc_lo, v[2:3], v[7:8]
	s_and_b32 exec_lo, exec_lo, vcc_lo
	s_cbranch_execz .LBB8_113
; %bb.111:
	s_mov_b32 s0, 0
.LBB8_112:                              ; =>This Inner Loop Header: Depth=1
	s_sleep 1
	global_store_b64 v[4:5], v[2:3], off
	s_waitcnt_vscnt null, 0x0
	global_atomic_cmpswap_b64 v[7:8], v6, v[0:3], s[2:3] offset:24 glc
	s_waitcnt vmcnt(0)
	v_cmp_eq_u64_e32 vcc_lo, v[7:8], v[2:3]
	v_dual_mov_b32 v2, v7 :: v_dual_mov_b32 v3, v8
	s_or_b32 s0, vcc_lo, s0
	s_delay_alu instid0(SALU_CYCLE_1)
	s_and_not1_b32 exec_lo, exec_lo, s0
	s_cbranch_execnz .LBB8_112
.LBB8_113:
	s_or_b32 exec_lo, exec_lo, s6
	s_delay_alu instid0(SALU_CYCLE_1)
	s_or_b32 exec_lo, exec_lo, s1
	s_waitcnt lgkmcnt(0)
	s_setpc_b64 s[30:31]
.Lfunc_end8:
	.size	__ockl_fprintf_append_string_n, .Lfunc_end8-__ockl_fprintf_append_string_n
                                        ; -- End function
	.section	.AMDGPU.csdata,"",@progbits
; Function info:
; codeLenInByte = 4740
; NumSgprs: 34
; NumVgprs: 36
; ScratchSize: 0
; MemoryBound: 0
	.text
	.p2align	2                               ; -- Begin function __assert_fail
	.type	__assert_fail,@function
__assert_fail:                          ; @__assert_fail
; %bb.0:
	s_waitcnt vmcnt(0) expcnt(0) lgkmcnt(0)
	s_mov_b32 s20, s33
	s_mov_b32 s33, s32
	s_or_saveexec_b32 s0, -1
	scratch_store_b32 off, v40, s33 offset:48 ; 4-byte Folded Spill
	s_mov_b32 exec_lo, s0
	v_writelane_b32 v40, s30, 0
	s_add_i32 s32, s32, 64
	v_writelane_b32 v40, s31, 1
	s_getpc_b64 s[0:1]
	s_add_u32 s0, s0, __const.__assert_fail.fmt@rel32@lo+4
	s_addc_u32 s1, s1, __const.__assert_fail.fmt@rel32@hi+12
	s_getpc_b64 s[2:3]
	s_add_u32 s2, s2, __const.__assert_fail.fmt@rel32@lo+20
	s_addc_u32 s3, s3, __const.__assert_fail.fmt@rel32@hi+28
	v_mbcnt_lo_u32_b32 v37, -1, 0
	s_clause 0x1
	s_load_b128 s[4:7], s[0:1], 0x0
	s_load_b128 s[12:15], s[2:3], 0x0
	s_load_b64 s[2:3], s[8:9], 0x50
	v_dual_mov_b32 v5, v2 :: v_dual_mov_b32 v4, v1
	v_mov_b32_e32 v1, 0
	v_readfirstlane_b32 s0, v37
	v_dual_mov_b32 v3, 0 :: v_dual_mov_b32 v14, 0x73256020
	v_mov_b32_e32 v17, 0xa2e
	v_mov_b32_e32 v15, 0x61662027
	s_delay_alu instid0(VALU_DEP_4)
	v_cmp_eq_u32_e64 s0, s0, v37
	v_mov_b32_e32 v2, 0
	s_waitcnt lgkmcnt(0)
	v_dual_mov_b32 v16, 0x64656c69 :: v_dual_mov_b32 v9, s7
	v_mov_b32_e32 v10, s12
	v_dual_mov_b32 v8, s6 :: v_dual_mov_b32 v7, s5
	v_mov_b32_e32 v12, s14
	;; [unrolled: 2-line block ×3, first 2 shown]
	s_clause 0x4
	scratch_store_b128 off, v[6:9], s33
	scratch_store_b128 off, v[10:13], s33 offset:16
	scratch_store_b8 off, v3, s33 offset:46
	scratch_store_b16 off, v17, s33 offset:44
	scratch_store_b96 off, v[14:16], s33 offset:32
	s_and_saveexec_b32 s1, s0
	s_cbranch_execz .LBB9_6
; %bb.1:
	global_load_b64 v[8:9], v3, s[2:3] offset:24 glc
	s_waitcnt vmcnt(0)
	buffer_gl1_inv
	buffer_gl0_inv
	s_clause 0x1
	global_load_b64 v[1:2], v3, s[2:3] offset:40
	global_load_b64 v[6:7], v3, s[2:3]
	s_mov_b32 s4, exec_lo
	s_waitcnt vmcnt(1)
	v_and_b32_e32 v2, v2, v9
	v_and_b32_e32 v1, v1, v8
	s_delay_alu instid0(VALU_DEP_2) | instskip(NEXT) | instid1(VALU_DEP_2)
	v_mul_lo_u32 v2, v2, 24
	v_mul_hi_u32 v10, v1, 24
	v_mul_lo_u32 v1, v1, 24
	s_delay_alu instid0(VALU_DEP_2) | instskip(SKIP_1) | instid1(VALU_DEP_2)
	v_add_nc_u32_e32 v2, v10, v2
	s_waitcnt vmcnt(0)
	v_add_co_u32 v1, vcc_lo, v6, v1
	s_delay_alu instid0(VALU_DEP_2)
	v_add_co_ci_u32_e32 v2, vcc_lo, v7, v2, vcc_lo
	global_load_b64 v[6:7], v[1:2], off glc
	s_waitcnt vmcnt(0)
	global_atomic_cmpswap_b64 v[1:2], v3, v[6:9], s[2:3] offset:24 glc
	s_waitcnt vmcnt(0)
	buffer_gl1_inv
	buffer_gl0_inv
	v_cmpx_ne_u64_e64 v[1:2], v[8:9]
	s_cbranch_execz .LBB9_5
; %bb.2:
	s_mov_b32 s5, 0
	.p2align	6
.LBB9_3:                                ; =>This Inner Loop Header: Depth=1
	s_sleep 1
	s_clause 0x1
	global_load_b64 v[6:7], v3, s[2:3] offset:40
	global_load_b64 v[10:11], v3, s[2:3]
	v_dual_mov_b32 v9, v2 :: v_dual_mov_b32 v8, v1
	s_waitcnt vmcnt(1)
	s_delay_alu instid0(VALU_DEP_1) | instskip(SKIP_1) | instid1(VALU_DEP_1)
	v_and_b32_e32 v6, v6, v8
	s_waitcnt vmcnt(0)
	v_mad_u64_u32 v[1:2], null, v6, 24, v[10:11]
	v_and_b32_e32 v10, v7, v9
	s_delay_alu instid0(VALU_DEP_1) | instskip(NEXT) | instid1(VALU_DEP_1)
	v_mad_u64_u32 v[6:7], null, v10, 24, v[2:3]
	v_mov_b32_e32 v2, v6
	global_load_b64 v[6:7], v[1:2], off glc
	s_waitcnt vmcnt(0)
	global_atomic_cmpswap_b64 v[1:2], v3, v[6:9], s[2:3] offset:24 glc
	s_waitcnt vmcnt(0)
	buffer_gl1_inv
	buffer_gl0_inv
	v_cmp_eq_u64_e32 vcc_lo, v[1:2], v[8:9]
	s_or_b32 s5, vcc_lo, s5
	s_delay_alu instid0(SALU_CYCLE_1)
	s_and_not1_b32 exec_lo, exec_lo, s5
	s_cbranch_execnz .LBB9_3
; %bb.4:
	s_or_b32 exec_lo, exec_lo, s5
.LBB9_5:
	s_delay_alu instid0(SALU_CYCLE_1)
	s_or_b32 exec_lo, exec_lo, s4
.LBB9_6:
	s_delay_alu instid0(SALU_CYCLE_1)
	s_or_b32 exec_lo, exec_lo, s1
	s_clause 0x1
	global_load_b64 v[6:7], v3, s[2:3] offset:40
	global_load_b128 v[10:13], v3, s[2:3]
	v_readfirstlane_b32 s4, v1
	v_readfirstlane_b32 s5, v2
	s_mov_b32 s1, exec_lo
	s_waitcnt vmcnt(1)
	v_readfirstlane_b32 s6, v6
	v_readfirstlane_b32 s7, v7
	s_delay_alu instid0(VALU_DEP_1) | instskip(NEXT) | instid1(SALU_CYCLE_1)
	s_and_b64 s[6:7], s[4:5], s[6:7]
	s_mul_i32 s10, s7, 24
	s_mul_hi_u32 s11, s6, 24
	s_mul_i32 s12, s6, 24
	s_add_i32 s11, s11, s10
	s_waitcnt vmcnt(0)
	v_add_co_u32 v1, vcc_lo, v10, s12
	v_add_co_ci_u32_e32 v2, vcc_lo, s11, v11, vcc_lo
	s_and_saveexec_b32 s10, s0
	s_cbranch_execz .LBB9_8
; %bb.7:
	v_dual_mov_b32 v6, s1 :: v_dual_mov_b32 v7, 0
	v_dual_mov_b32 v8, 2 :: v_dual_mov_b32 v9, 1
	global_store_b128 v[1:2], v[6:9], off offset:8
.LBB9_8:
	s_or_b32 exec_lo, exec_lo, s10
	s_lshl_b64 s[6:7], s[6:7], 12
	v_dual_mov_b32 v7, 0 :: v_dual_lshlrev_b32 v36, 6, v37
	v_add_co_u32 v3, vcc_lo, v12, s6
	v_add_co_ci_u32_e32 v13, vcc_lo, s7, v13, vcc_lo
	s_mov_b32 s12, 0
	s_delay_alu instid0(VALU_DEP_2)
	v_add_co_u32 v12, vcc_lo, v3, v36
	s_mov_b32 s15, s12
	s_mov_b32 s13, s12
	;; [unrolled: 1-line block ×3, first 2 shown]
	v_dual_mov_b32 v6, 33 :: v_dual_mov_b32 v9, v7
	v_dual_mov_b32 v8, 1 :: v_dual_mov_b32 v17, s15
	v_readfirstlane_b32 s6, v3
	v_readfirstlane_b32 s7, v13
	v_add_co_ci_u32_e32 v13, vcc_lo, 0, v13, vcc_lo
	v_dual_mov_b32 v16, s14 :: v_dual_mov_b32 v15, s13
	v_mov_b32_e32 v14, s12
	s_clause 0x3
	global_store_b128 v36, v[6:9], s[6:7]
	global_store_b128 v36, v[14:17], s[6:7] offset:16
	global_store_b128 v36, v[14:17], s[6:7] offset:32
	;; [unrolled: 1-line block ×3, first 2 shown]
	s_and_saveexec_b32 s1, s0
	s_cbranch_execz .LBB9_16
; %bb.9:
	s_clause 0x1
	global_load_b64 v[18:19], v7, s[2:3] offset:32 glc
	global_load_b64 v[8:9], v7, s[2:3] offset:40
	s_mov_b32 s6, exec_lo
	v_dual_mov_b32 v16, s4 :: v_dual_mov_b32 v17, s5
	s_waitcnt vmcnt(0)
	v_and_b32_e32 v3, s5, v9
	v_and_b32_e32 v6, s4, v8
	s_delay_alu instid0(VALU_DEP_2) | instskip(NEXT) | instid1(VALU_DEP_2)
	v_mul_lo_u32 v3, v3, 24
	v_mul_hi_u32 v8, v6, 24
	v_mul_lo_u32 v6, v6, 24
	s_delay_alu instid0(VALU_DEP_2) | instskip(NEXT) | instid1(VALU_DEP_2)
	v_add_nc_u32_e32 v3, v8, v3
	v_add_co_u32 v14, vcc_lo, v10, v6
	s_delay_alu instid0(VALU_DEP_2)
	v_add_co_ci_u32_e32 v15, vcc_lo, v11, v3, vcc_lo
	global_store_b64 v[14:15], v[18:19], off
	s_waitcnt_vscnt null, 0x0
	global_atomic_cmpswap_b64 v[10:11], v7, v[16:19], s[2:3] offset:32 glc
	s_waitcnt vmcnt(0)
	v_cmpx_ne_u64_e64 v[10:11], v[18:19]
	s_cbranch_execz .LBB9_12
; %bb.10:
	s_mov_b32 s7, 0
.LBB9_11:                               ; =>This Inner Loop Header: Depth=1
	v_dual_mov_b32 v8, s4 :: v_dual_mov_b32 v9, s5
	s_sleep 1
	global_store_b64 v[14:15], v[10:11], off
	s_waitcnt_vscnt null, 0x0
	global_atomic_cmpswap_b64 v[8:9], v7, v[8:11], s[2:3] offset:32 glc
	s_waitcnt vmcnt(0)
	v_cmp_eq_u64_e32 vcc_lo, v[8:9], v[10:11]
	v_dual_mov_b32 v11, v9 :: v_dual_mov_b32 v10, v8
	s_or_b32 s7, vcc_lo, s7
	s_delay_alu instid0(SALU_CYCLE_1)
	s_and_not1_b32 exec_lo, exec_lo, s7
	s_cbranch_execnz .LBB9_11
.LBB9_12:
	s_or_b32 exec_lo, exec_lo, s6
	v_mov_b32_e32 v9, 0
	s_mov_b32 s7, exec_lo
	s_mov_b32 s6, exec_lo
	v_mbcnt_lo_u32_b32 v3, s7, 0
	global_load_b64 v[6:7], v9, s[2:3] offset:16
	v_cmpx_eq_u32_e32 0, v3
	s_cbranch_execz .LBB9_14
; %bb.13:
	s_bcnt1_i32_b32 s7, s7
	s_delay_alu instid0(SALU_CYCLE_1)
	v_mov_b32_e32 v8, s7
	s_waitcnt vmcnt(0)
	global_atomic_add_u64 v[6:7], v[8:9], off offset:8
.LBB9_14:
	s_or_b32 exec_lo, exec_lo, s6
	s_waitcnt vmcnt(0)
	global_load_b64 v[8:9], v[6:7], off offset:16
	s_waitcnt vmcnt(0)
	v_cmp_eq_u64_e32 vcc_lo, 0, v[8:9]
	s_cbranch_vccnz .LBB9_16
; %bb.15:
	global_load_b32 v6, v[6:7], off offset:24
	v_mov_b32_e32 v7, 0
	s_waitcnt vmcnt(0)
	v_and_b32_e32 v3, 0xffffff, v6
	s_waitcnt_vscnt null, 0x0
	global_store_b64 v[8:9], v[6:7], off
	v_readfirstlane_b32 m0, v3
	s_sendmsg sendmsg(MSG_INTERRUPT)
.LBB9_16:
	s_or_b32 exec_lo, exec_lo, s1
	s_branch .LBB9_20
	.p2align	6
.LBB9_17:                               ;   in Loop: Header=BB9_20 Depth=1
	s_or_b32 exec_lo, exec_lo, s1
	s_delay_alu instid0(VALU_DEP_1) | instskip(NEXT) | instid1(VALU_DEP_1)
	v_readfirstlane_b32 s1, v3
	s_cmp_eq_u32 s1, 0
	s_cbranch_scc1 .LBB9_19
; %bb.18:                               ;   in Loop: Header=BB9_20 Depth=1
	s_sleep 1
	s_cbranch_execnz .LBB9_20
	s_branch .LBB9_22
	.p2align	6
.LBB9_19:
	s_branch .LBB9_22
.LBB9_20:                               ; =>This Inner Loop Header: Depth=1
	v_mov_b32_e32 v3, 1
	s_and_saveexec_b32 s1, s0
	s_cbranch_execz .LBB9_17
; %bb.21:                               ;   in Loop: Header=BB9_20 Depth=1
	global_load_b32 v3, v[1:2], off offset:20 glc
	s_waitcnt vmcnt(0)
	buffer_gl1_inv
	buffer_gl0_inv
	v_and_b32_e32 v3, 1, v3
	s_branch .LBB9_17
.LBB9_22:
	global_load_b64 v[10:11], v[12:13], off
	s_and_saveexec_b32 s1, s0
	s_cbranch_execz .LBB9_26
; %bb.23:
	v_mov_b32_e32 v3, 0
	s_clause 0x2
	global_load_b64 v[1:2], v3, s[2:3] offset:40
	global_load_b64 v[12:13], v3, s[2:3] offset:24 glc
	global_load_b64 v[8:9], v3, s[2:3]
	s_waitcnt vmcnt(2)
	v_add_co_u32 v14, vcc_lo, v1, 1
	v_add_co_ci_u32_e32 v15, vcc_lo, 0, v2, vcc_lo
	s_delay_alu instid0(VALU_DEP_2) | instskip(NEXT) | instid1(VALU_DEP_2)
	v_add_co_u32 v6, vcc_lo, v14, s4
	v_add_co_ci_u32_e32 v7, vcc_lo, s5, v15, vcc_lo
	s_delay_alu instid0(VALU_DEP_1) | instskip(SKIP_1) | instid1(VALU_DEP_1)
	v_cmp_eq_u64_e32 vcc_lo, 0, v[6:7]
	v_cndmask_b32_e32 v6, v6, v14, vcc_lo
	v_and_b32_e32 v1, v6, v1
	s_delay_alu instid0(VALU_DEP_1) | instskip(SKIP_2) | instid1(VALU_DEP_2)
	v_mul_hi_u32 v14, v1, 24
	v_cndmask_b32_e32 v7, v7, v15, vcc_lo
	v_mul_lo_u32 v1, v1, 24
	v_and_b32_e32 v2, v7, v2
	s_waitcnt vmcnt(0)
	s_delay_alu instid0(VALU_DEP_2) | instskip(NEXT) | instid1(VALU_DEP_2)
	v_add_co_u32 v1, vcc_lo, v8, v1
	v_mul_lo_u32 v2, v2, 24
	v_mov_b32_e32 v8, v12
	s_delay_alu instid0(VALU_DEP_2) | instskip(NEXT) | instid1(VALU_DEP_1)
	v_add_nc_u32_e32 v2, v14, v2
	v_add_co_ci_u32_e32 v2, vcc_lo, v9, v2, vcc_lo
	v_mov_b32_e32 v9, v13
	global_store_b64 v[1:2], v[12:13], off
	s_waitcnt_vscnt null, 0x0
	global_atomic_cmpswap_b64 v[8:9], v3, v[6:9], s[2:3] offset:24 glc
	s_waitcnt vmcnt(0)
	v_cmp_ne_u64_e32 vcc_lo, v[8:9], v[12:13]
	s_and_b32 exec_lo, exec_lo, vcc_lo
	s_cbranch_execz .LBB9_26
; %bb.24:
	s_mov_b32 s0, 0
.LBB9_25:                               ; =>This Inner Loop Header: Depth=1
	s_sleep 1
	global_store_b64 v[1:2], v[8:9], off
	s_waitcnt_vscnt null, 0x0
	global_atomic_cmpswap_b64 v[12:13], v3, v[6:9], s[2:3] offset:24 glc
	s_waitcnt vmcnt(0)
	v_cmp_eq_u64_e32 vcc_lo, v[12:13], v[8:9]
	v_dual_mov_b32 v8, v12 :: v_dual_mov_b32 v9, v13
	s_or_b32 s0, vcc_lo, s0
	s_delay_alu instid0(SALU_CYCLE_1)
	s_and_not1_b32 exec_lo, exec_lo, s0
	s_cbranch_execnz .LBB9_25
.LBB9_26:
	s_or_b32 exec_lo, exec_lo, s1
	v_mov_b32_e32 v2, s33
	s_mov_b32 s0, 0
.LBB9_27:                               ; =>This Inner Loop Header: Depth=1
	scratch_load_u8 v3, v2, off
	v_add_nc_u32_e32 v1, 1, v2
	s_delay_alu instid0(VALU_DEP_1) | instskip(SKIP_3) | instid1(SALU_CYCLE_1)
	v_mov_b32_e32 v2, v1
	s_waitcnt vmcnt(0)
	v_cmp_eq_u16_e32 vcc_lo, 0, v3
	s_or_b32 s0, vcc_lo, s0
	s_and_not1_b32 exec_lo, exec_lo, s0
	s_cbranch_execnz .LBB9_27
; %bb.28:
	s_or_b32 exec_lo, exec_lo, s0
	v_cmp_ne_u32_e64 s0, -1, s33
	s_delay_alu instid0(VALU_DEP_1)
	s_and_b32 vcc_lo, exec_lo, s0
	s_cbranch_vccz .LBB9_113
; %bb.29:
	v_subrev_nc_u32_e32 v1, s33, v1
	v_dual_mov_b32 v38, s33 :: v_dual_and_b32 v3, 2, v10
	v_dual_mov_b32 v13, 0 :: v_dual_and_b32 v6, -3, v10
	v_dual_mov_b32 v7, v11 :: v_dual_mov_b32 v14, 2
	s_delay_alu instid0(VALU_DEP_4)
	v_ashrrev_i32_e32 v2, 31, v1
	v_mov_b32_e32 v15, 1
	s_mov_b32 s11, 0
	s_mov_b32 s10, 0
	s_branch .LBB9_31
.LBB9_30:                               ;   in Loop: Header=BB9_31 Depth=1
	s_or_b32 exec_lo, exec_lo, s1
	v_sub_co_u32 v1, vcc_lo, v1, v32
	v_sub_co_ci_u32_e32 v2, vcc_lo, v2, v33, vcc_lo
	v_add_nc_u32_e32 v38, v38, v32
	s_delay_alu instid0(VALU_DEP_2) | instskip(SKIP_1) | instid1(SALU_CYCLE_1)
	v_cmp_eq_u64_e32 vcc_lo, 0, v[1:2]
	s_or_b32 s10, vcc_lo, s10
	s_and_not1_b32 exec_lo, exec_lo, s10
	s_cbranch_execz .LBB9_114
.LBB9_31:                               ; =>This Loop Header: Depth=1
                                        ;     Child Loop BB9_34 Depth 2
                                        ;     Child Loop BB9_42 Depth 2
	;; [unrolled: 1-line block ×11, first 2 shown]
	v_cmp_gt_u64_e32 vcc_lo, 56, v[1:2]
	s_mov_b32 s4, exec_lo
                                        ; implicit-def: $vgpr8_vgpr9
                                        ; implicit-def: $sgpr1
	v_dual_cndmask_b32 v33, 0, v2 :: v_dual_cndmask_b32 v32, 56, v1
	v_cmpx_gt_u64_e32 8, v[1:2]
	s_xor_b32 s4, exec_lo, s4
	s_cbranch_execz .LBB9_37
; %bb.32:                               ;   in Loop: Header=BB9_31 Depth=1
	s_waitcnt vmcnt(0)
	v_mov_b32_e32 v8, 0
	v_mov_b32_e32 v9, 0
	s_mov_b64 s[0:1], 0
	s_mov_b32 s5, exec_lo
	v_cmpx_ne_u64_e32 0, v[1:2]
	s_cbranch_execz .LBB9_36
; %bb.33:                               ;   in Loop: Header=BB9_31 Depth=1
	v_lshlrev_b64 v[16:17], 3, v[32:33]
	v_mov_b32_e32 v8, 0
	v_dual_mov_b32 v9, 0 :: v_dual_mov_b32 v12, v38
	s_mov_b32 s6, 0
.LBB9_34:                               ;   Parent Loop BB9_31 Depth=1
                                        ; =>  This Inner Loop Header: Depth=2
	scratch_load_u8 v17, v12, off
	v_mov_b32_e32 v18, s11
	v_add_nc_u32_e32 v12, 1, v12
	s_waitcnt vmcnt(0)
	v_and_b32_e32 v17, 0xffff, v17
	s_delay_alu instid0(VALU_DEP_1) | instskip(SKIP_3) | instid1(VALU_DEP_2)
	v_lshlrev_b64 v[17:18], s0, v[17:18]
	s_add_u32 s0, s0, 8
	s_addc_u32 s1, s1, 0
	v_cmp_eq_u32_e32 vcc_lo, s0, v16
	v_or_b32_e32 v9, v18, v9
	s_delay_alu instid0(VALU_DEP_3) | instskip(SKIP_1) | instid1(SALU_CYCLE_1)
	v_or_b32_e32 v8, v17, v8
	s_or_b32 s6, vcc_lo, s6
	s_and_not1_b32 exec_lo, exec_lo, s6
	s_cbranch_execnz .LBB9_34
; %bb.35:                               ;   in Loop: Header=BB9_31 Depth=1
	s_or_b32 exec_lo, exec_lo, s6
.LBB9_36:                               ;   in Loop: Header=BB9_31 Depth=1
	s_delay_alu instid0(SALU_CYCLE_1)
	s_or_b32 exec_lo, exec_lo, s5
	s_mov_b32 s1, 0
.LBB9_37:                               ;   in Loop: Header=BB9_31 Depth=1
	s_or_saveexec_b32 s0, s4
	v_mov_b32_e32 v18, s1
	v_mov_b32_e32 v12, v38
	s_xor_b32 exec_lo, exec_lo, s0
	s_cbranch_execz .LBB9_39
; %bb.38:                               ;   in Loop: Header=BB9_31 Depth=1
	scratch_load_b64 v[8:9], v38, off
	v_add_nc_u32_e32 v18, -8, v32
	s_waitcnt vmcnt(0)
	v_and_b32_e32 v12, 0xff, v9
	v_and_b32_e32 v16, 0xff00, v9
	v_and_b32_e32 v17, 0xff0000, v9
	v_and_b32_e32 v9, 0xff000000, v9
	v_or3_b32 v8, v8, 0, 0
	s_delay_alu instid0(VALU_DEP_4) | instskip(NEXT) | instid1(VALU_DEP_1)
	v_or_b32_e32 v12, v12, v16
	v_or3_b32 v9, v12, v17, v9
	v_add_nc_u32_e32 v12, 8, v38
.LBB9_39:                               ;   in Loop: Header=BB9_31 Depth=1
	s_or_b32 exec_lo, exec_lo, s0
                                        ; implicit-def: $vgpr16_vgpr17
                                        ; implicit-def: $sgpr1
	s_delay_alu instid0(SALU_CYCLE_1)
	s_mov_b32 s0, exec_lo
	v_cmpx_gt_u32_e32 8, v18
	s_xor_b32 s4, exec_lo, s0
	s_cbranch_execz .LBB9_45
; %bb.40:                               ;   in Loop: Header=BB9_31 Depth=1
	v_mov_b32_e32 v16, 0
	v_mov_b32_e32 v17, 0
	s_mov_b32 s5, exec_lo
	v_cmpx_ne_u32_e32 0, v18
	s_cbranch_execz .LBB9_44
; %bb.41:                               ;   in Loop: Header=BB9_31 Depth=1
	v_mov_b32_e32 v16, 0
	v_mov_b32_e32 v17, 0
	s_mov_b64 s[0:1], 0
	s_mov_b32 s6, 0
	s_mov_b32 s7, 0
	.p2align	6
.LBB9_42:                               ;   Parent Loop BB9_31 Depth=1
                                        ; =>  This Inner Loop Header: Depth=2
	s_delay_alu instid0(SALU_CYCLE_1) | instskip(SKIP_1) | instid1(SALU_CYCLE_1)
	v_dual_mov_b32 v20, s11 :: v_dual_add_nc_u32 v19, s7, v12
	s_add_i32 s7, s7, 1
	v_cmp_eq_u32_e32 vcc_lo, s7, v18
	scratch_load_u8 v19, v19, off
	s_waitcnt vmcnt(0)
	v_and_b32_e32 v19, 0xffff, v19
	s_delay_alu instid0(VALU_DEP_1) | instskip(SKIP_3) | instid1(VALU_DEP_1)
	v_lshlrev_b64 v[19:20], s0, v[19:20]
	s_add_u32 s0, s0, 8
	s_addc_u32 s1, s1, 0
	s_or_b32 s6, vcc_lo, s6
	v_or_b32_e32 v17, v20, v17
	s_delay_alu instid0(VALU_DEP_2)
	v_or_b32_e32 v16, v19, v16
	s_and_not1_b32 exec_lo, exec_lo, s6
	s_cbranch_execnz .LBB9_42
; %bb.43:                               ;   in Loop: Header=BB9_31 Depth=1
	s_or_b32 exec_lo, exec_lo, s6
.LBB9_44:                               ;   in Loop: Header=BB9_31 Depth=1
	s_delay_alu instid0(SALU_CYCLE_1)
	s_or_b32 exec_lo, exec_lo, s5
	s_mov_b32 s1, 0
                                        ; implicit-def: $vgpr18
.LBB9_45:                               ;   in Loop: Header=BB9_31 Depth=1
	s_or_saveexec_b32 s0, s4
	v_mov_b32_e32 v20, s1
	s_xor_b32 exec_lo, exec_lo, s0
	s_cbranch_execz .LBB9_47
; %bb.46:                               ;   in Loop: Header=BB9_31 Depth=1
	scratch_load_b64 v[16:17], v12, off
	v_add_nc_u32_e32 v12, 8, v12
	s_waitcnt vmcnt(0)
	v_and_b32_e32 v19, 0xff, v17
	v_and_b32_e32 v20, 0xff00, v17
	;; [unrolled: 1-line block ×4, first 2 shown]
	v_or3_b32 v16, v16, 0, 0
	s_delay_alu instid0(VALU_DEP_4) | instskip(SKIP_1) | instid1(VALU_DEP_2)
	v_or_b32_e32 v19, v19, v20
	v_add_nc_u32_e32 v20, -8, v18
	v_or3_b32 v17, v19, v21, v17
.LBB9_47:                               ;   in Loop: Header=BB9_31 Depth=1
	s_or_b32 exec_lo, exec_lo, s0
                                        ; implicit-def: $sgpr1
	s_delay_alu instid0(SALU_CYCLE_1) | instskip(NEXT) | instid1(VALU_DEP_1)
	s_mov_b32 s0, exec_lo
	v_cmpx_gt_u32_e32 8, v20
	s_xor_b32 s4, exec_lo, s0
	s_cbranch_execz .LBB9_53
; %bb.48:                               ;   in Loop: Header=BB9_31 Depth=1
	v_mov_b32_e32 v18, 0
	v_mov_b32_e32 v19, 0
	s_mov_b32 s5, exec_lo
	v_cmpx_ne_u32_e32 0, v20
	s_cbranch_execz .LBB9_52
; %bb.49:                               ;   in Loop: Header=BB9_31 Depth=1
	v_mov_b32_e32 v18, 0
	v_mov_b32_e32 v19, 0
	s_mov_b64 s[0:1], 0
	s_mov_b32 s6, 0
	s_mov_b32 s7, 0
	.p2align	6
.LBB9_50:                               ;   Parent Loop BB9_31 Depth=1
                                        ; =>  This Inner Loop Header: Depth=2
	s_delay_alu instid0(SALU_CYCLE_1) | instskip(SKIP_1) | instid1(SALU_CYCLE_1)
	v_dual_mov_b32 v22, s11 :: v_dual_add_nc_u32 v21, s7, v12
	s_add_i32 s7, s7, 1
	v_cmp_eq_u32_e32 vcc_lo, s7, v20
	scratch_load_u8 v21, v21, off
	s_waitcnt vmcnt(0)
	v_and_b32_e32 v21, 0xffff, v21
	s_delay_alu instid0(VALU_DEP_1) | instskip(SKIP_3) | instid1(VALU_DEP_1)
	v_lshlrev_b64 v[21:22], s0, v[21:22]
	s_add_u32 s0, s0, 8
	s_addc_u32 s1, s1, 0
	s_or_b32 s6, vcc_lo, s6
	v_or_b32_e32 v19, v22, v19
	s_delay_alu instid0(VALU_DEP_2)
	v_or_b32_e32 v18, v21, v18
	s_and_not1_b32 exec_lo, exec_lo, s6
	s_cbranch_execnz .LBB9_50
; %bb.51:                               ;   in Loop: Header=BB9_31 Depth=1
	s_or_b32 exec_lo, exec_lo, s6
.LBB9_52:                               ;   in Loop: Header=BB9_31 Depth=1
	s_delay_alu instid0(SALU_CYCLE_1)
	s_or_b32 exec_lo, exec_lo, s5
	s_mov_b32 s1, 0
                                        ; implicit-def: $vgpr20
.LBB9_53:                               ;   in Loop: Header=BB9_31 Depth=1
	s_or_saveexec_b32 s0, s4
	v_mov_b32_e32 v22, s1
	s_xor_b32 exec_lo, exec_lo, s0
	s_cbranch_execz .LBB9_55
; %bb.54:                               ;   in Loop: Header=BB9_31 Depth=1
	scratch_load_b64 v[18:19], v12, off
	v_add_nc_u32_e32 v12, 8, v12
	s_waitcnt vmcnt(0)
	v_and_b32_e32 v21, 0xff, v19
	v_and_b32_e32 v22, 0xff00, v19
	;; [unrolled: 1-line block ×4, first 2 shown]
	v_or3_b32 v18, v18, 0, 0
	s_delay_alu instid0(VALU_DEP_4) | instskip(SKIP_1) | instid1(VALU_DEP_2)
	v_or_b32_e32 v21, v21, v22
	v_add_nc_u32_e32 v22, -8, v20
	v_or3_b32 v19, v21, v23, v19
.LBB9_55:                               ;   in Loop: Header=BB9_31 Depth=1
	s_or_b32 exec_lo, exec_lo, s0
                                        ; implicit-def: $vgpr20_vgpr21
                                        ; implicit-def: $sgpr1
	s_delay_alu instid0(SALU_CYCLE_1) | instskip(NEXT) | instid1(VALU_DEP_1)
	s_mov_b32 s0, exec_lo
	v_cmpx_gt_u32_e32 8, v22
	s_xor_b32 s4, exec_lo, s0
	s_cbranch_execz .LBB9_61
; %bb.56:                               ;   in Loop: Header=BB9_31 Depth=1
	v_mov_b32_e32 v20, 0
	v_mov_b32_e32 v21, 0
	s_mov_b32 s5, exec_lo
	v_cmpx_ne_u32_e32 0, v22
	s_cbranch_execz .LBB9_60
; %bb.57:                               ;   in Loop: Header=BB9_31 Depth=1
	v_mov_b32_e32 v20, 0
	v_mov_b32_e32 v21, 0
	s_mov_b64 s[0:1], 0
	s_mov_b32 s6, 0
	s_mov_b32 s7, 0
	.p2align	6
.LBB9_58:                               ;   Parent Loop BB9_31 Depth=1
                                        ; =>  This Inner Loop Header: Depth=2
	s_delay_alu instid0(SALU_CYCLE_1) | instskip(SKIP_1) | instid1(SALU_CYCLE_1)
	v_dual_mov_b32 v24, s11 :: v_dual_add_nc_u32 v23, s7, v12
	s_add_i32 s7, s7, 1
	v_cmp_eq_u32_e32 vcc_lo, s7, v22
	scratch_load_u8 v23, v23, off
	s_waitcnt vmcnt(0)
	v_and_b32_e32 v23, 0xffff, v23
	s_delay_alu instid0(VALU_DEP_1) | instskip(SKIP_3) | instid1(VALU_DEP_1)
	v_lshlrev_b64 v[23:24], s0, v[23:24]
	s_add_u32 s0, s0, 8
	s_addc_u32 s1, s1, 0
	s_or_b32 s6, vcc_lo, s6
	v_or_b32_e32 v21, v24, v21
	s_delay_alu instid0(VALU_DEP_2)
	v_or_b32_e32 v20, v23, v20
	s_and_not1_b32 exec_lo, exec_lo, s6
	s_cbranch_execnz .LBB9_58
; %bb.59:                               ;   in Loop: Header=BB9_31 Depth=1
	s_or_b32 exec_lo, exec_lo, s6
.LBB9_60:                               ;   in Loop: Header=BB9_31 Depth=1
	s_delay_alu instid0(SALU_CYCLE_1)
	s_or_b32 exec_lo, exec_lo, s5
	s_mov_b32 s1, 0
                                        ; implicit-def: $vgpr22
.LBB9_61:                               ;   in Loop: Header=BB9_31 Depth=1
	s_or_saveexec_b32 s0, s4
	v_mov_b32_e32 v24, s1
	s_xor_b32 exec_lo, exec_lo, s0
	s_cbranch_execz .LBB9_63
; %bb.62:                               ;   in Loop: Header=BB9_31 Depth=1
	scratch_load_b64 v[20:21], v12, off
	v_add_nc_u32_e32 v12, 8, v12
	s_waitcnt vmcnt(0)
	v_and_b32_e32 v23, 0xff, v21
	v_and_b32_e32 v24, 0xff00, v21
	;; [unrolled: 1-line block ×4, first 2 shown]
	v_or3_b32 v20, v20, 0, 0
	s_delay_alu instid0(VALU_DEP_4) | instskip(SKIP_1) | instid1(VALU_DEP_2)
	v_or_b32_e32 v23, v23, v24
	v_add_nc_u32_e32 v24, -8, v22
	v_or3_b32 v21, v23, v25, v21
.LBB9_63:                               ;   in Loop: Header=BB9_31 Depth=1
	s_or_b32 exec_lo, exec_lo, s0
                                        ; implicit-def: $sgpr1
	s_delay_alu instid0(SALU_CYCLE_1) | instskip(NEXT) | instid1(VALU_DEP_1)
	s_mov_b32 s0, exec_lo
	v_cmpx_gt_u32_e32 8, v24
	s_xor_b32 s4, exec_lo, s0
	s_cbranch_execz .LBB9_69
; %bb.64:                               ;   in Loop: Header=BB9_31 Depth=1
	v_mov_b32_e32 v22, 0
	v_mov_b32_e32 v23, 0
	s_mov_b32 s5, exec_lo
	v_cmpx_ne_u32_e32 0, v24
	s_cbranch_execz .LBB9_68
; %bb.65:                               ;   in Loop: Header=BB9_31 Depth=1
	v_mov_b32_e32 v22, 0
	v_mov_b32_e32 v23, 0
	s_mov_b64 s[0:1], 0
	s_mov_b32 s6, 0
	s_mov_b32 s7, 0
	.p2align	6
.LBB9_66:                               ;   Parent Loop BB9_31 Depth=1
                                        ; =>  This Inner Loop Header: Depth=2
	s_delay_alu instid0(SALU_CYCLE_1) | instskip(SKIP_1) | instid1(SALU_CYCLE_1)
	v_dual_mov_b32 v26, s11 :: v_dual_add_nc_u32 v25, s7, v12
	s_add_i32 s7, s7, 1
	v_cmp_eq_u32_e32 vcc_lo, s7, v24
	scratch_load_u8 v25, v25, off
	s_waitcnt vmcnt(0)
	v_and_b32_e32 v25, 0xffff, v25
	s_delay_alu instid0(VALU_DEP_1) | instskip(SKIP_3) | instid1(VALU_DEP_1)
	v_lshlrev_b64 v[25:26], s0, v[25:26]
	s_add_u32 s0, s0, 8
	s_addc_u32 s1, s1, 0
	s_or_b32 s6, vcc_lo, s6
	v_or_b32_e32 v23, v26, v23
	s_delay_alu instid0(VALU_DEP_2)
	v_or_b32_e32 v22, v25, v22
	s_and_not1_b32 exec_lo, exec_lo, s6
	s_cbranch_execnz .LBB9_66
; %bb.67:                               ;   in Loop: Header=BB9_31 Depth=1
	s_or_b32 exec_lo, exec_lo, s6
.LBB9_68:                               ;   in Loop: Header=BB9_31 Depth=1
	s_delay_alu instid0(SALU_CYCLE_1)
	s_or_b32 exec_lo, exec_lo, s5
	s_mov_b32 s1, 0
                                        ; implicit-def: $vgpr24
.LBB9_69:                               ;   in Loop: Header=BB9_31 Depth=1
	s_or_saveexec_b32 s0, s4
	v_mov_b32_e32 v26, s1
	s_xor_b32 exec_lo, exec_lo, s0
	s_cbranch_execz .LBB9_71
; %bb.70:                               ;   in Loop: Header=BB9_31 Depth=1
	scratch_load_b64 v[22:23], v12, off
	v_add_nc_u32_e32 v12, 8, v12
	s_waitcnt vmcnt(0)
	v_and_b32_e32 v25, 0xff, v23
	v_and_b32_e32 v26, 0xff00, v23
	;; [unrolled: 1-line block ×4, first 2 shown]
	v_or3_b32 v22, v22, 0, 0
	s_delay_alu instid0(VALU_DEP_4) | instskip(SKIP_1) | instid1(VALU_DEP_2)
	v_or_b32_e32 v25, v25, v26
	v_add_nc_u32_e32 v26, -8, v24
	v_or3_b32 v23, v25, v27, v23
.LBB9_71:                               ;   in Loop: Header=BB9_31 Depth=1
	s_or_b32 exec_lo, exec_lo, s0
                                        ; implicit-def: $vgpr24_vgpr25
                                        ; implicit-def: $sgpr1
	s_delay_alu instid0(SALU_CYCLE_1) | instskip(NEXT) | instid1(VALU_DEP_1)
	s_mov_b32 s0, exec_lo
	v_cmpx_gt_u32_e32 8, v26
	s_xor_b32 s4, exec_lo, s0
	s_cbranch_execz .LBB9_77
; %bb.72:                               ;   in Loop: Header=BB9_31 Depth=1
	v_mov_b32_e32 v24, 0
	v_mov_b32_e32 v25, 0
	s_mov_b32 s5, exec_lo
	v_cmpx_ne_u32_e32 0, v26
	s_cbranch_execz .LBB9_76
; %bb.73:                               ;   in Loop: Header=BB9_31 Depth=1
	v_mov_b32_e32 v24, 0
	v_mov_b32_e32 v25, 0
	s_mov_b64 s[0:1], 0
	s_mov_b32 s6, 0
	s_mov_b32 s7, 0
	.p2align	6
.LBB9_74:                               ;   Parent Loop BB9_31 Depth=1
                                        ; =>  This Inner Loop Header: Depth=2
	s_delay_alu instid0(SALU_CYCLE_1) | instskip(SKIP_1) | instid1(SALU_CYCLE_1)
	v_dual_mov_b32 v28, s11 :: v_dual_add_nc_u32 v27, s7, v12
	s_add_i32 s7, s7, 1
	v_cmp_eq_u32_e32 vcc_lo, s7, v26
	scratch_load_u8 v27, v27, off
	s_waitcnt vmcnt(0)
	v_and_b32_e32 v27, 0xffff, v27
	s_delay_alu instid0(VALU_DEP_1) | instskip(SKIP_3) | instid1(VALU_DEP_1)
	v_lshlrev_b64 v[27:28], s0, v[27:28]
	s_add_u32 s0, s0, 8
	s_addc_u32 s1, s1, 0
	s_or_b32 s6, vcc_lo, s6
	v_or_b32_e32 v25, v28, v25
	s_delay_alu instid0(VALU_DEP_2)
	v_or_b32_e32 v24, v27, v24
	s_and_not1_b32 exec_lo, exec_lo, s6
	s_cbranch_execnz .LBB9_74
; %bb.75:                               ;   in Loop: Header=BB9_31 Depth=1
	s_or_b32 exec_lo, exec_lo, s6
.LBB9_76:                               ;   in Loop: Header=BB9_31 Depth=1
	s_delay_alu instid0(SALU_CYCLE_1)
	s_or_b32 exec_lo, exec_lo, s5
	s_mov_b32 s1, 0
                                        ; implicit-def: $vgpr26
.LBB9_77:                               ;   in Loop: Header=BB9_31 Depth=1
	s_or_saveexec_b32 s0, s4
	v_mov_b32_e32 v28, s1
	s_xor_b32 exec_lo, exec_lo, s0
	s_cbranch_execz .LBB9_79
; %bb.78:                               ;   in Loop: Header=BB9_31 Depth=1
	scratch_load_b64 v[24:25], v12, off
	v_add_nc_u32_e32 v12, 8, v12
	s_waitcnt vmcnt(0)
	v_and_b32_e32 v27, 0xff, v25
	v_and_b32_e32 v28, 0xff00, v25
	;; [unrolled: 1-line block ×4, first 2 shown]
	v_or3_b32 v24, v24, 0, 0
	s_delay_alu instid0(VALU_DEP_4) | instskip(SKIP_1) | instid1(VALU_DEP_2)
	v_or_b32_e32 v27, v27, v28
	v_add_nc_u32_e32 v28, -8, v26
	v_or3_b32 v25, v27, v29, v25
.LBB9_79:                               ;   in Loop: Header=BB9_31 Depth=1
	s_or_b32 exec_lo, exec_lo, s0
	s_delay_alu instid0(SALU_CYCLE_1) | instskip(NEXT) | instid1(VALU_DEP_1)
	s_mov_b32 s0, exec_lo
	v_cmpx_gt_u32_e32 8, v28
	s_xor_b32 s4, exec_lo, s0
	s_cbranch_execz .LBB9_85
; %bb.80:                               ;   in Loop: Header=BB9_31 Depth=1
	v_mov_b32_e32 v26, 0
	v_mov_b32_e32 v27, 0
	s_mov_b32 s5, exec_lo
	v_cmpx_ne_u32_e32 0, v28
	s_cbranch_execz .LBB9_84
; %bb.81:                               ;   in Loop: Header=BB9_31 Depth=1
	v_mov_b32_e32 v26, 0
	v_mov_b32_e32 v27, 0
	s_mov_b64 s[0:1], 0
	s_mov_b32 s6, 0
	.p2align	6
.LBB9_82:                               ;   Parent Loop BB9_31 Depth=1
                                        ; =>  This Inner Loop Header: Depth=2
	scratch_load_u8 v29, v12, off
	v_mov_b32_e32 v30, s11
	v_add_nc_u32_e32 v28, -1, v28
	v_add_nc_u32_e32 v12, 1, v12
	s_delay_alu instid0(VALU_DEP_2) | instskip(SKIP_2) | instid1(VALU_DEP_1)
	v_cmp_eq_u32_e32 vcc_lo, 0, v28
	s_waitcnt vmcnt(0)
	v_and_b32_e32 v29, 0xffff, v29
	v_lshlrev_b64 v[29:30], s0, v[29:30]
	s_add_u32 s0, s0, 8
	s_addc_u32 s1, s1, 0
	s_or_b32 s6, vcc_lo, s6
	s_delay_alu instid0(VALU_DEP_1) | instskip(NEXT) | instid1(VALU_DEP_2)
	v_or_b32_e32 v27, v30, v27
	v_or_b32_e32 v26, v29, v26
	s_and_not1_b32 exec_lo, exec_lo, s6
	s_cbranch_execnz .LBB9_82
; %bb.83:                               ;   in Loop: Header=BB9_31 Depth=1
	s_or_b32 exec_lo, exec_lo, s6
.LBB9_84:                               ;   in Loop: Header=BB9_31 Depth=1
	s_delay_alu instid0(SALU_CYCLE_1)
	s_or_b32 exec_lo, exec_lo, s5
                                        ; implicit-def: $vgpr12
.LBB9_85:                               ;   in Loop: Header=BB9_31 Depth=1
	s_and_not1_saveexec_b32 s0, s4
	s_cbranch_execz .LBB9_87
; %bb.86:                               ;   in Loop: Header=BB9_31 Depth=1
	scratch_load_b64 v[26:27], v12, off
	s_waitcnt vmcnt(0)
	v_and_b32_e32 v12, 0xff, v27
	v_and_b32_e32 v28, 0xff00, v27
	;; [unrolled: 1-line block ×4, first 2 shown]
	v_or3_b32 v26, v26, 0, 0
	s_delay_alu instid0(VALU_DEP_4) | instskip(NEXT) | instid1(VALU_DEP_1)
	v_or_b32_e32 v12, v12, v28
	v_or3_b32 v27, v12, v29, v27
.LBB9_87:                               ;   in Loop: Header=BB9_31 Depth=1
	s_or_b32 exec_lo, exec_lo, s0
	v_readfirstlane_b32 s0, v37
	v_mov_b32_e32 v34, 0
	v_mov_b32_e32 v35, 0
	s_delay_alu instid0(VALU_DEP_3) | instskip(NEXT) | instid1(VALU_DEP_1)
	v_cmp_eq_u32_e64 s0, s0, v37
	s_and_saveexec_b32 s1, s0
	s_cbranch_execz .LBB9_93
; %bb.88:                               ;   in Loop: Header=BB9_31 Depth=1
	global_load_b64 v[30:31], v13, s[2:3] offset:24 glc
	s_waitcnt vmcnt(0)
	buffer_gl1_inv
	buffer_gl0_inv
	s_clause 0x1
	global_load_b64 v[28:29], v13, s[2:3] offset:40
	global_load_b64 v[34:35], v13, s[2:3]
	s_mov_b32 s4, exec_lo
	s_waitcnt vmcnt(1)
	v_and_b32_e32 v12, v29, v31
	v_and_b32_e32 v28, v28, v30
	s_delay_alu instid0(VALU_DEP_2) | instskip(NEXT) | instid1(VALU_DEP_2)
	v_mul_lo_u32 v12, v12, 24
	v_mul_hi_u32 v29, v28, 24
	v_mul_lo_u32 v28, v28, 24
	s_delay_alu instid0(VALU_DEP_2) | instskip(SKIP_1) | instid1(VALU_DEP_2)
	v_add_nc_u32_e32 v12, v29, v12
	s_waitcnt vmcnt(0)
	v_add_co_u32 v28, vcc_lo, v34, v28
	s_delay_alu instid0(VALU_DEP_2)
	v_add_co_ci_u32_e32 v29, vcc_lo, v35, v12, vcc_lo
	global_load_b64 v[28:29], v[28:29], off glc
	s_waitcnt vmcnt(0)
	global_atomic_cmpswap_b64 v[34:35], v13, v[28:31], s[2:3] offset:24 glc
	s_waitcnt vmcnt(0)
	buffer_gl1_inv
	buffer_gl0_inv
	v_cmpx_ne_u64_e64 v[34:35], v[30:31]
	s_cbranch_execz .LBB9_92
; %bb.89:                               ;   in Loop: Header=BB9_31 Depth=1
	s_mov_b32 s5, 0
	.p2align	6
.LBB9_90:                               ;   Parent Loop BB9_31 Depth=1
                                        ; =>  This Inner Loop Header: Depth=2
	s_sleep 1
	s_clause 0x1
	global_load_b64 v[28:29], v13, s[2:3] offset:40
	global_load_b64 v[48:49], v13, s[2:3]
	v_dual_mov_b32 v30, v34 :: v_dual_mov_b32 v31, v35
	s_waitcnt vmcnt(1)
	s_delay_alu instid0(VALU_DEP_1) | instskip(SKIP_1) | instid1(VALU_DEP_1)
	v_and_b32_e32 v12, v28, v30
	s_waitcnt vmcnt(0)
	v_mad_u64_u32 v[34:35], null, v12, 24, v[48:49]
	s_delay_alu instid0(VALU_DEP_1) | instskip(NEXT) | instid1(VALU_DEP_1)
	v_dual_mov_b32 v12, v35 :: v_dual_and_b32 v39, v29, v31
	v_mad_u64_u32 v[28:29], null, v39, 24, v[12:13]
	s_delay_alu instid0(VALU_DEP_1)
	v_mov_b32_e32 v35, v28
	global_load_b64 v[28:29], v[34:35], off glc
	s_waitcnt vmcnt(0)
	global_atomic_cmpswap_b64 v[34:35], v13, v[28:31], s[2:3] offset:24 glc
	s_waitcnt vmcnt(0)
	buffer_gl1_inv
	buffer_gl0_inv
	v_cmp_eq_u64_e32 vcc_lo, v[34:35], v[30:31]
	s_or_b32 s5, vcc_lo, s5
	s_delay_alu instid0(SALU_CYCLE_1)
	s_and_not1_b32 exec_lo, exec_lo, s5
	s_cbranch_execnz .LBB9_90
; %bb.91:                               ;   in Loop: Header=BB9_31 Depth=1
	s_or_b32 exec_lo, exec_lo, s5
.LBB9_92:                               ;   in Loop: Header=BB9_31 Depth=1
	s_delay_alu instid0(SALU_CYCLE_1)
	s_or_b32 exec_lo, exec_lo, s4
.LBB9_93:                               ;   in Loop: Header=BB9_31 Depth=1
	s_delay_alu instid0(SALU_CYCLE_1)
	s_or_b32 exec_lo, exec_lo, s1
	s_clause 0x1
	global_load_b64 v[48:49], v13, s[2:3] offset:40
	global_load_b128 v[28:31], v13, s[2:3]
	v_readfirstlane_b32 s4, v34
	v_readfirstlane_b32 s5, v35
	s_mov_b32 s1, exec_lo
	s_waitcnt vmcnt(1)
	v_readfirstlane_b32 s6, v48
	v_readfirstlane_b32 s7, v49
	s_delay_alu instid0(VALU_DEP_1) | instskip(NEXT) | instid1(SALU_CYCLE_1)
	s_and_b64 s[6:7], s[4:5], s[6:7]
	s_mul_i32 s12, s7, 24
	s_mul_hi_u32 s13, s6, 24
	s_mul_i32 s14, s6, 24
	s_add_i32 s13, s13, s12
	s_waitcnt vmcnt(0)
	v_add_co_u32 v34, vcc_lo, v28, s14
	v_add_co_ci_u32_e32 v35, vcc_lo, s13, v29, vcc_lo
	s_and_saveexec_b32 s12, s0
	s_cbranch_execz .LBB9_95
; %bb.94:                               ;   in Loop: Header=BB9_31 Depth=1
	v_mov_b32_e32 v12, s1
	global_store_b128 v[34:35], v[12:15], off offset:8
.LBB9_95:                               ;   in Loop: Header=BB9_31 Depth=1
	s_or_b32 exec_lo, exec_lo, s12
	v_cmp_lt_u64_e32 vcc_lo, 56, v[1:2]
	v_or_b32_e32 v12, 0, v7
	v_or_b32_e32 v39, v6, v3
	v_lshl_add_u32 v48, v32, 2, 28
	s_lshl_b64 s[6:7], s[6:7], 12
	s_delay_alu instid0(SALU_CYCLE_1) | instskip(NEXT) | instid1(VALU_DEP_1)
	v_add_co_u32 v30, s1, v30, s6
	v_add_co_ci_u32_e64 v31, s1, s7, v31, s1
	v_dual_cndmask_b32 v7, v12, v7 :: v_dual_cndmask_b32 v6, v39, v6
	v_and_b32_e32 v12, 0x1e0, v48
	s_delay_alu instid0(VALU_DEP_4) | instskip(NEXT) | instid1(VALU_DEP_4)
	v_readfirstlane_b32 s6, v30
	v_readfirstlane_b32 s7, v31
	s_delay_alu instid0(VALU_DEP_3)
	v_and_or_b32 v6, 0xffffff1f, v6, v12
	s_clause 0x3
	global_store_b128 v36, v[6:9], s[6:7]
	global_store_b128 v36, v[16:19], s[6:7] offset:16
	global_store_b128 v36, v[20:23], s[6:7] offset:32
	;; [unrolled: 1-line block ×3, first 2 shown]
	s_and_saveexec_b32 s1, s0
	s_cbranch_execz .LBB9_103
; %bb.96:                               ;   in Loop: Header=BB9_31 Depth=1
	s_clause 0x1
	global_load_b64 v[20:21], v13, s[2:3] offset:32 glc
	global_load_b64 v[6:7], v13, s[2:3] offset:40
	v_dual_mov_b32 v18, s4 :: v_dual_mov_b32 v19, s5
	s_waitcnt vmcnt(0)
	v_readfirstlane_b32 s6, v6
	v_readfirstlane_b32 s7, v7
	s_delay_alu instid0(VALU_DEP_1) | instskip(NEXT) | instid1(SALU_CYCLE_1)
	s_and_b64 s[6:7], s[6:7], s[4:5]
	s_mul_i32 s7, s7, 24
	s_mul_hi_u32 s12, s6, 24
	s_mul_i32 s6, s6, 24
	s_add_i32 s12, s12, s7
	v_add_co_u32 v16, vcc_lo, v28, s6
	v_add_co_ci_u32_e32 v17, vcc_lo, s12, v29, vcc_lo
	s_mov_b32 s6, exec_lo
	global_store_b64 v[16:17], v[20:21], off
	s_waitcnt_vscnt null, 0x0
	global_atomic_cmpswap_b64 v[8:9], v13, v[18:21], s[2:3] offset:32 glc
	s_waitcnt vmcnt(0)
	v_cmpx_ne_u64_e64 v[8:9], v[20:21]
	s_cbranch_execz .LBB9_99
; %bb.97:                               ;   in Loop: Header=BB9_31 Depth=1
	s_mov_b32 s7, 0
.LBB9_98:                               ;   Parent Loop BB9_31 Depth=1
                                        ; =>  This Inner Loop Header: Depth=2
	v_dual_mov_b32 v6, s4 :: v_dual_mov_b32 v7, s5
	s_sleep 1
	global_store_b64 v[16:17], v[8:9], off
	s_waitcnt_vscnt null, 0x0
	global_atomic_cmpswap_b64 v[6:7], v13, v[6:9], s[2:3] offset:32 glc
	s_waitcnt vmcnt(0)
	v_cmp_eq_u64_e32 vcc_lo, v[6:7], v[8:9]
	v_dual_mov_b32 v9, v7 :: v_dual_mov_b32 v8, v6
	s_or_b32 s7, vcc_lo, s7
	s_delay_alu instid0(SALU_CYCLE_1)
	s_and_not1_b32 exec_lo, exec_lo, s7
	s_cbranch_execnz .LBB9_98
.LBB9_99:                               ;   in Loop: Header=BB9_31 Depth=1
	s_or_b32 exec_lo, exec_lo, s6
	global_load_b64 v[6:7], v13, s[2:3] offset:16
	s_mov_b32 s7, exec_lo
	s_mov_b32 s6, exec_lo
	v_mbcnt_lo_u32_b32 v8, s7, 0
	s_delay_alu instid0(VALU_DEP_1)
	v_cmpx_eq_u32_e32 0, v8
	s_cbranch_execz .LBB9_101
; %bb.100:                              ;   in Loop: Header=BB9_31 Depth=1
	s_bcnt1_i32_b32 s7, s7
	s_delay_alu instid0(SALU_CYCLE_1)
	v_mov_b32_e32 v12, s7
	s_waitcnt vmcnt(0)
	global_atomic_add_u64 v[6:7], v[12:13], off offset:8
.LBB9_101:                              ;   in Loop: Header=BB9_31 Depth=1
	s_or_b32 exec_lo, exec_lo, s6
	s_waitcnt vmcnt(0)
	global_load_b64 v[8:9], v[6:7], off offset:16
	s_waitcnt vmcnt(0)
	v_cmp_eq_u64_e32 vcc_lo, 0, v[8:9]
	s_cbranch_vccnz .LBB9_103
; %bb.102:                              ;   in Loop: Header=BB9_31 Depth=1
	global_load_b32 v12, v[6:7], off offset:24
	s_waitcnt vmcnt(0)
	v_and_b32_e32 v6, 0xffffff, v12
	s_waitcnt_vscnt null, 0x0
	global_store_b64 v[8:9], v[12:13], off
	v_readfirstlane_b32 m0, v6
	s_sendmsg sendmsg(MSG_INTERRUPT)
.LBB9_103:                              ;   in Loop: Header=BB9_31 Depth=1
	s_or_b32 exec_lo, exec_lo, s1
	v_add_co_u32 v6, vcc_lo, v30, v36
	v_add_co_ci_u32_e32 v7, vcc_lo, 0, v31, vcc_lo
	s_branch .LBB9_107
	.p2align	6
.LBB9_104:                              ;   in Loop: Header=BB9_107 Depth=2
	s_or_b32 exec_lo, exec_lo, s1
	s_delay_alu instid0(VALU_DEP_1) | instskip(NEXT) | instid1(VALU_DEP_1)
	v_readfirstlane_b32 s1, v8
	s_cmp_eq_u32 s1, 0
	s_cbranch_scc1 .LBB9_106
; %bb.105:                              ;   in Loop: Header=BB9_107 Depth=2
	s_sleep 1
	s_cbranch_execnz .LBB9_107
	s_branch .LBB9_109
	.p2align	6
.LBB9_106:                              ;   in Loop: Header=BB9_31 Depth=1
	s_branch .LBB9_109
.LBB9_107:                              ;   Parent Loop BB9_31 Depth=1
                                        ; =>  This Inner Loop Header: Depth=2
	v_mov_b32_e32 v8, 1
	s_and_saveexec_b32 s1, s0
	s_cbranch_execz .LBB9_104
; %bb.108:                              ;   in Loop: Header=BB9_107 Depth=2
	global_load_b32 v8, v[34:35], off offset:20 glc
	s_waitcnt vmcnt(0)
	buffer_gl1_inv
	buffer_gl0_inv
	v_and_b32_e32 v8, 1, v8
	s_branch .LBB9_104
.LBB9_109:                              ;   in Loop: Header=BB9_31 Depth=1
	global_load_b128 v[6:9], v[6:7], off
	s_and_saveexec_b32 s1, s0
	s_cbranch_execz .LBB9_30
; %bb.110:                              ;   in Loop: Header=BB9_31 Depth=1
	s_clause 0x2
	global_load_b64 v[8:9], v13, s[2:3] offset:40
	global_load_b64 v[20:21], v13, s[2:3] offset:24 glc
	global_load_b64 v[18:19], v13, s[2:3]
	s_waitcnt vmcnt(2)
	v_add_co_u32 v12, vcc_lo, v8, 1
	v_add_co_ci_u32_e32 v22, vcc_lo, 0, v9, vcc_lo
	s_delay_alu instid0(VALU_DEP_2) | instskip(NEXT) | instid1(VALU_DEP_2)
	v_add_co_u32 v16, vcc_lo, v12, s4
	v_add_co_ci_u32_e32 v17, vcc_lo, s5, v22, vcc_lo
	s_delay_alu instid0(VALU_DEP_1) | instskip(SKIP_1) | instid1(VALU_DEP_1)
	v_cmp_eq_u64_e32 vcc_lo, 0, v[16:17]
	v_dual_cndmask_b32 v17, v17, v22 :: v_dual_cndmask_b32 v16, v16, v12
	v_and_b32_e32 v9, v17, v9
	s_delay_alu instid0(VALU_DEP_2) | instskip(NEXT) | instid1(VALU_DEP_1)
	v_and_b32_e32 v8, v16, v8
	v_mul_hi_u32 v12, v8, 24
	v_mul_lo_u32 v8, v8, 24
	s_waitcnt vmcnt(0)
	s_delay_alu instid0(VALU_DEP_1) | instskip(SKIP_2) | instid1(VALU_DEP_1)
	v_add_co_u32 v8, vcc_lo, v18, v8
	v_mov_b32_e32 v18, v20
	v_mul_lo_u32 v9, v9, 24
	v_add_nc_u32_e32 v9, v12, v9
	s_delay_alu instid0(VALU_DEP_1)
	v_add_co_ci_u32_e32 v9, vcc_lo, v19, v9, vcc_lo
	v_mov_b32_e32 v19, v21
	global_store_b64 v[8:9], v[20:21], off
	s_waitcnt_vscnt null, 0x0
	global_atomic_cmpswap_b64 v[18:19], v13, v[16:19], s[2:3] offset:24 glc
	s_waitcnt vmcnt(0)
	v_cmp_ne_u64_e32 vcc_lo, v[18:19], v[20:21]
	s_and_b32 exec_lo, exec_lo, vcc_lo
	s_cbranch_execz .LBB9_30
; %bb.111:                              ;   in Loop: Header=BB9_31 Depth=1
	s_mov_b32 s0, 0
.LBB9_112:                              ;   Parent Loop BB9_31 Depth=1
                                        ; =>  This Inner Loop Header: Depth=2
	s_sleep 1
	global_store_b64 v[8:9], v[18:19], off
	s_waitcnt_vscnt null, 0x0
	global_atomic_cmpswap_b64 v[20:21], v13, v[16:19], s[2:3] offset:24 glc
	s_waitcnt vmcnt(0)
	v_cmp_eq_u64_e32 vcc_lo, v[20:21], v[18:19]
	v_dual_mov_b32 v18, v20 :: v_dual_mov_b32 v19, v21
	s_or_b32 s0, vcc_lo, s0
	s_delay_alu instid0(SALU_CYCLE_1)
	s_and_not1_b32 exec_lo, exec_lo, s0
	s_cbranch_execnz .LBB9_112
	s_branch .LBB9_30
.LBB9_113:
                                        ; implicit-def: $vgpr6_vgpr7
	s_cbranch_execnz .LBB9_115
	s_branch .LBB9_142
.LBB9_114:
	s_or_b32 exec_lo, exec_lo, s10
	s_branch .LBB9_142
.LBB9_115:
	v_readfirstlane_b32 s0, v37
	v_mov_b32_e32 v1, 0
	v_mov_b32_e32 v2, 0
	s_delay_alu instid0(VALU_DEP_3) | instskip(NEXT) | instid1(VALU_DEP_1)
	v_cmp_eq_u32_e64 s0, s0, v37
	s_and_saveexec_b32 s1, s0
	s_cbranch_execz .LBB9_121
; %bb.116:
	v_mov_b32_e32 v3, 0
	s_mov_b32 s4, exec_lo
	global_load_b64 v[8:9], v3, s[2:3] offset:24 glc
	s_waitcnt vmcnt(0)
	buffer_gl1_inv
	buffer_gl0_inv
	s_clause 0x1
	global_load_b64 v[1:2], v3, s[2:3] offset:40
	global_load_b64 v[6:7], v3, s[2:3]
	s_waitcnt vmcnt(1)
	v_and_b32_e32 v2, v2, v9
	v_and_b32_e32 v1, v1, v8
	s_delay_alu instid0(VALU_DEP_2) | instskip(NEXT) | instid1(VALU_DEP_2)
	v_mul_lo_u32 v2, v2, 24
	v_mul_hi_u32 v12, v1, 24
	v_mul_lo_u32 v1, v1, 24
	s_delay_alu instid0(VALU_DEP_2) | instskip(SKIP_1) | instid1(VALU_DEP_2)
	v_add_nc_u32_e32 v2, v12, v2
	s_waitcnt vmcnt(0)
	v_add_co_u32 v1, vcc_lo, v6, v1
	s_delay_alu instid0(VALU_DEP_2)
	v_add_co_ci_u32_e32 v2, vcc_lo, v7, v2, vcc_lo
	global_load_b64 v[6:7], v[1:2], off glc
	s_waitcnt vmcnt(0)
	global_atomic_cmpswap_b64 v[1:2], v3, v[6:9], s[2:3] offset:24 glc
	s_waitcnt vmcnt(0)
	buffer_gl1_inv
	buffer_gl0_inv
	v_cmpx_ne_u64_e64 v[1:2], v[8:9]
	s_cbranch_execz .LBB9_120
; %bb.117:
	s_mov_b32 s5, 0
	.p2align	6
.LBB9_118:                              ; =>This Inner Loop Header: Depth=1
	s_sleep 1
	s_clause 0x1
	global_load_b64 v[6:7], v3, s[2:3] offset:40
	global_load_b64 v[12:13], v3, s[2:3]
	v_dual_mov_b32 v9, v2 :: v_dual_mov_b32 v8, v1
	s_waitcnt vmcnt(1)
	s_delay_alu instid0(VALU_DEP_1) | instskip(SKIP_1) | instid1(VALU_DEP_1)
	v_and_b32_e32 v6, v6, v8
	s_waitcnt vmcnt(0)
	v_mad_u64_u32 v[1:2], null, v6, 24, v[12:13]
	v_and_b32_e32 v12, v7, v9
	s_delay_alu instid0(VALU_DEP_1) | instskip(NEXT) | instid1(VALU_DEP_1)
	v_mad_u64_u32 v[6:7], null, v12, 24, v[2:3]
	v_mov_b32_e32 v2, v6
	global_load_b64 v[6:7], v[1:2], off glc
	s_waitcnt vmcnt(0)
	global_atomic_cmpswap_b64 v[1:2], v3, v[6:9], s[2:3] offset:24 glc
	s_waitcnt vmcnt(0)
	buffer_gl1_inv
	buffer_gl0_inv
	v_cmp_eq_u64_e32 vcc_lo, v[1:2], v[8:9]
	s_or_b32 s5, vcc_lo, s5
	s_delay_alu instid0(SALU_CYCLE_1)
	s_and_not1_b32 exec_lo, exec_lo, s5
	s_cbranch_execnz .LBB9_118
; %bb.119:
	s_or_b32 exec_lo, exec_lo, s5
.LBB9_120:
	s_delay_alu instid0(SALU_CYCLE_1)
	s_or_b32 exec_lo, exec_lo, s4
.LBB9_121:
	s_delay_alu instid0(SALU_CYCLE_1)
	s_or_b32 exec_lo, exec_lo, s1
	v_mov_b32_e32 v12, 0
	v_readfirstlane_b32 s4, v1
	v_readfirstlane_b32 s5, v2
	s_mov_b32 s1, exec_lo
	s_clause 0x1
	global_load_b64 v[13:14], v12, s[2:3] offset:40
	global_load_b128 v[6:9], v12, s[2:3]
	s_waitcnt vmcnt(1)
	v_readfirstlane_b32 s6, v13
	v_readfirstlane_b32 s7, v14
	s_delay_alu instid0(VALU_DEP_1) | instskip(NEXT) | instid1(SALU_CYCLE_1)
	s_and_b64 s[6:7], s[4:5], s[6:7]
	s_mul_i32 s10, s7, 24
	s_mul_hi_u32 s11, s6, 24
	s_mul_i32 s12, s6, 24
	s_add_i32 s11, s11, s10
	s_waitcnt vmcnt(0)
	v_add_co_u32 v1, vcc_lo, v6, s12
	v_add_co_ci_u32_e32 v2, vcc_lo, s11, v7, vcc_lo
	s_and_saveexec_b32 s10, s0
	s_cbranch_execz .LBB9_123
; %bb.122:
	v_dual_mov_b32 v13, s1 :: v_dual_mov_b32 v14, v12
	v_dual_mov_b32 v15, 2 :: v_dual_mov_b32 v16, 1
	global_store_b128 v[1:2], v[13:16], off offset:8
.LBB9_123:
	s_or_b32 exec_lo, exec_lo, s10
	s_lshl_b64 s[6:7], s[6:7], 12
	s_mov_b32 s12, 0
	v_add_co_u32 v3, vcc_lo, v8, s6
	v_add_co_ci_u32_e32 v8, vcc_lo, s7, v9, vcc_lo
	s_mov_b32 s15, s12
	s_delay_alu instid0(VALU_DEP_2)
	v_add_co_u32 v14, vcc_lo, v3, v36
	s_mov_b32 s13, s12
	s_mov_b32 s14, s12
	v_and_or_b32 v10, 0xffffff1f, v10, 32
	v_mov_b32_e32 v13, v12
	v_readfirstlane_b32 s6, v3
	v_readfirstlane_b32 s7, v8
	v_dual_mov_b32 v19, s15 :: v_dual_mov_b32 v16, s12
	v_add_co_ci_u32_e32 v15, vcc_lo, 0, v8, vcc_lo
	v_dual_mov_b32 v18, s14 :: v_dual_mov_b32 v17, s13
	s_clause 0x3
	global_store_b128 v36, v[10:13], s[6:7]
	global_store_b128 v36, v[16:19], s[6:7] offset:16
	global_store_b128 v36, v[16:19], s[6:7] offset:32
	global_store_b128 v36, v[16:19], s[6:7] offset:48
	s_and_saveexec_b32 s1, s0
	s_cbranch_execz .LBB9_131
; %bb.124:
	v_dual_mov_b32 v3, 0 :: v_dual_mov_b32 v16, s4
	v_mov_b32_e32 v17, s5
	s_clause 0x1
	global_load_b64 v[18:19], v3, s[2:3] offset:32 glc
	global_load_b64 v[8:9], v3, s[2:3] offset:40
	s_waitcnt vmcnt(0)
	v_readfirstlane_b32 s6, v8
	v_readfirstlane_b32 s7, v9
	s_delay_alu instid0(VALU_DEP_1) | instskip(NEXT) | instid1(SALU_CYCLE_1)
	s_and_b64 s[6:7], s[6:7], s[4:5]
	s_mul_i32 s7, s7, 24
	s_mul_hi_u32 s10, s6, 24
	s_mul_i32 s6, s6, 24
	s_add_i32 s10, s10, s7
	v_add_co_u32 v10, vcc_lo, v6, s6
	v_add_co_ci_u32_e32 v11, vcc_lo, s10, v7, vcc_lo
	s_mov_b32 s6, exec_lo
	global_store_b64 v[10:11], v[18:19], off
	s_waitcnt_vscnt null, 0x0
	global_atomic_cmpswap_b64 v[8:9], v3, v[16:19], s[2:3] offset:32 glc
	s_waitcnt vmcnt(0)
	v_cmpx_ne_u64_e64 v[8:9], v[18:19]
	s_cbranch_execz .LBB9_127
; %bb.125:
	s_mov_b32 s7, 0
.LBB9_126:                              ; =>This Inner Loop Header: Depth=1
	v_dual_mov_b32 v6, s4 :: v_dual_mov_b32 v7, s5
	s_sleep 1
	global_store_b64 v[10:11], v[8:9], off
	s_waitcnt_vscnt null, 0x0
	global_atomic_cmpswap_b64 v[6:7], v3, v[6:9], s[2:3] offset:32 glc
	s_waitcnt vmcnt(0)
	v_cmp_eq_u64_e32 vcc_lo, v[6:7], v[8:9]
	v_dual_mov_b32 v9, v7 :: v_dual_mov_b32 v8, v6
	s_or_b32 s7, vcc_lo, s7
	s_delay_alu instid0(SALU_CYCLE_1)
	s_and_not1_b32 exec_lo, exec_lo, s7
	s_cbranch_execnz .LBB9_126
.LBB9_127:
	s_or_b32 exec_lo, exec_lo, s6
	v_mov_b32_e32 v9, 0
	s_mov_b32 s7, exec_lo
	s_mov_b32 s6, exec_lo
	v_mbcnt_lo_u32_b32 v3, s7, 0
	global_load_b64 v[6:7], v9, s[2:3] offset:16
	v_cmpx_eq_u32_e32 0, v3
	s_cbranch_execz .LBB9_129
; %bb.128:
	s_bcnt1_i32_b32 s7, s7
	s_delay_alu instid0(SALU_CYCLE_1)
	v_mov_b32_e32 v8, s7
	s_waitcnt vmcnt(0)
	global_atomic_add_u64 v[6:7], v[8:9], off offset:8
.LBB9_129:
	s_or_b32 exec_lo, exec_lo, s6
	s_waitcnt vmcnt(0)
	global_load_b64 v[8:9], v[6:7], off offset:16
	s_waitcnt vmcnt(0)
	v_cmp_eq_u64_e32 vcc_lo, 0, v[8:9]
	s_cbranch_vccnz .LBB9_131
; %bb.130:
	global_load_b32 v6, v[6:7], off offset:24
	v_mov_b32_e32 v7, 0
	s_waitcnt vmcnt(0)
	v_and_b32_e32 v3, 0xffffff, v6
	s_waitcnt_vscnt null, 0x0
	global_store_b64 v[8:9], v[6:7], off
	v_readfirstlane_b32 m0, v3
	s_sendmsg sendmsg(MSG_INTERRUPT)
.LBB9_131:
	s_or_b32 exec_lo, exec_lo, s1
	s_branch .LBB9_135
	.p2align	6
.LBB9_132:                              ;   in Loop: Header=BB9_135 Depth=1
	s_or_b32 exec_lo, exec_lo, s1
	s_delay_alu instid0(VALU_DEP_1) | instskip(NEXT) | instid1(VALU_DEP_1)
	v_readfirstlane_b32 s1, v3
	s_cmp_eq_u32 s1, 0
	s_cbranch_scc1 .LBB9_134
; %bb.133:                              ;   in Loop: Header=BB9_135 Depth=1
	s_sleep 1
	s_cbranch_execnz .LBB9_135
	s_branch .LBB9_137
	.p2align	6
.LBB9_134:
	s_branch .LBB9_137
.LBB9_135:                              ; =>This Inner Loop Header: Depth=1
	v_mov_b32_e32 v3, 1
	s_and_saveexec_b32 s1, s0
	s_cbranch_execz .LBB9_132
; %bb.136:                              ;   in Loop: Header=BB9_135 Depth=1
	global_load_b32 v3, v[1:2], off offset:20 glc
	s_waitcnt vmcnt(0)
	buffer_gl1_inv
	buffer_gl0_inv
	v_and_b32_e32 v3, 1, v3
	s_branch .LBB9_132
.LBB9_137:
	global_load_b64 v[6:7], v[14:15], off
	s_and_saveexec_b32 s1, s0
	s_cbranch_execz .LBB9_141
; %bb.138:
	v_mov_b32_e32 v3, 0
	s_clause 0x2
	global_load_b64 v[1:2], v3, s[2:3] offset:40
	global_load_b64 v[12:13], v3, s[2:3] offset:24 glc
	global_load_b64 v[10:11], v3, s[2:3]
	s_waitcnt vmcnt(2)
	v_add_co_u32 v14, vcc_lo, v1, 1
	v_add_co_ci_u32_e32 v15, vcc_lo, 0, v2, vcc_lo
	s_delay_alu instid0(VALU_DEP_2) | instskip(NEXT) | instid1(VALU_DEP_2)
	v_add_co_u32 v8, vcc_lo, v14, s4
	v_add_co_ci_u32_e32 v9, vcc_lo, s5, v15, vcc_lo
	s_delay_alu instid0(VALU_DEP_1) | instskip(SKIP_1) | instid1(VALU_DEP_1)
	v_cmp_eq_u64_e32 vcc_lo, 0, v[8:9]
	v_cndmask_b32_e32 v8, v8, v14, vcc_lo
	v_and_b32_e32 v1, v8, v1
	s_delay_alu instid0(VALU_DEP_1) | instskip(SKIP_2) | instid1(VALU_DEP_2)
	v_mul_hi_u32 v14, v1, 24
	v_cndmask_b32_e32 v9, v9, v15, vcc_lo
	v_mul_lo_u32 v1, v1, 24
	v_and_b32_e32 v2, v9, v2
	s_waitcnt vmcnt(0)
	s_delay_alu instid0(VALU_DEP_2) | instskip(NEXT) | instid1(VALU_DEP_2)
	v_add_co_u32 v1, vcc_lo, v10, v1
	v_mul_lo_u32 v2, v2, 24
	v_mov_b32_e32 v10, v12
	s_delay_alu instid0(VALU_DEP_2) | instskip(NEXT) | instid1(VALU_DEP_1)
	v_add_nc_u32_e32 v2, v14, v2
	v_add_co_ci_u32_e32 v2, vcc_lo, v11, v2, vcc_lo
	v_mov_b32_e32 v11, v13
	global_store_b64 v[1:2], v[12:13], off
	s_waitcnt_vscnt null, 0x0
	global_atomic_cmpswap_b64 v[10:11], v3, v[8:11], s[2:3] offset:24 glc
	s_waitcnt vmcnt(0)
	v_cmp_ne_u64_e32 vcc_lo, v[10:11], v[12:13]
	s_and_b32 exec_lo, exec_lo, vcc_lo
	s_cbranch_execz .LBB9_141
; %bb.139:
	s_mov_b32 s0, 0
.LBB9_140:                              ; =>This Inner Loop Header: Depth=1
	s_sleep 1
	global_store_b64 v[1:2], v[10:11], off
	s_waitcnt_vscnt null, 0x0
	global_atomic_cmpswap_b64 v[12:13], v3, v[8:11], s[2:3] offset:24 glc
	s_waitcnt vmcnt(0)
	v_cmp_eq_u64_e32 vcc_lo, v[12:13], v[10:11]
	v_dual_mov_b32 v10, v12 :: v_dual_mov_b32 v11, v13
	s_or_b32 s0, vcc_lo, s0
	s_delay_alu instid0(SALU_CYCLE_1)
	s_and_not1_b32 exec_lo, exec_lo, s0
	s_cbranch_execnz .LBB9_140
.LBB9_141:
	s_or_b32 exec_lo, exec_lo, s1
.LBB9_142:
	s_getpc_b64 s[4:5]
	s_add_u32 s4, s4, .str.2@rel32@lo+4
	s_addc_u32 s5, s5, .str.2@rel32@hi+12
	s_delay_alu instid0(SALU_CYCLE_1)
	s_cmp_lg_u64 s[4:5], 0
	s_cbranch_scc0 .LBB9_220
; %bb.143:
	s_getpc_b64 s[0:1]
	s_add_u32 s0, s0, .str.2@rel32@lo+74
	s_addc_u32 s1, s1, .str.2@rel32@hi+82
	s_waitcnt vmcnt(0)
	v_dual_mov_b32 v12, 0 :: v_dual_and_b32 v3, 2, v6
	v_dual_mov_b32 v9, v7 :: v_dual_and_b32 v8, -3, v6
	v_dual_mov_b32 v13, 2 :: v_dual_mov_b32 v14, 1
	s_sub_i32 s6, s0, s4
	s_delay_alu instid0(SALU_CYCLE_1)
	s_ashr_i32 s7, s6, 31
	s_branch .LBB9_145
.LBB9_144:                              ;   in Loop: Header=BB9_145 Depth=1
	s_or_b32 exec_lo, exec_lo, s1
	s_sub_u32 s6, s6, s10
	s_subb_u32 s7, s7, s11
	s_add_u32 s4, s4, s10
	s_addc_u32 s5, s5, s11
	s_cmp_lg_u64 s[6:7], 0
	s_cbranch_scc0 .LBB9_221
.LBB9_145:                              ; =>This Loop Header: Depth=1
                                        ;     Child Loop BB9_154 Depth 2
                                        ;     Child Loop BB9_150 Depth 2
	;; [unrolled: 1-line block ×11, first 2 shown]
	v_cmp_lt_u64_e64 s0, s[6:7], 56
	v_cmp_gt_u64_e64 s1, s[6:7], 7
                                        ; implicit-def: $vgpr17_vgpr18
                                        ; implicit-def: $sgpr16
	s_delay_alu instid0(VALU_DEP_2) | instskip(SKIP_2) | instid1(VALU_DEP_1)
	s_and_b32 s0, s0, exec_lo
	s_cselect_b32 s11, s7, 0
	s_cselect_b32 s10, s6, 56
	s_and_b32 vcc_lo, exec_lo, s1
	s_mov_b32 s0, -1
	s_cbranch_vccz .LBB9_152
; %bb.146:                              ;   in Loop: Header=BB9_145 Depth=1
	s_and_not1_b32 vcc_lo, exec_lo, s0
	s_mov_b64 s[0:1], s[4:5]
	s_cbranch_vccz .LBB9_156
.LBB9_147:                              ;   in Loop: Header=BB9_145 Depth=1
	s_cmp_gt_u32 s16, 7
	s_cbranch_scc1 .LBB9_157
.LBB9_148:                              ;   in Loop: Header=BB9_145 Depth=1
	v_mov_b32_e32 v19, 0
	v_mov_b32_e32 v20, 0
	s_cmp_eq_u32 s16, 0
	s_cbranch_scc1 .LBB9_151
; %bb.149:                              ;   in Loop: Header=BB9_145 Depth=1
	s_mov_b64 s[12:13], 0
	s_mov_b64 s[14:15], 0
.LBB9_150:                              ;   Parent Loop BB9_145 Depth=1
                                        ; =>  This Inner Loop Header: Depth=2
	s_delay_alu instid0(SALU_CYCLE_1)
	s_add_u32 s18, s0, s14
	s_addc_u32 s19, s1, s15
	s_add_u32 s14, s14, 1
	global_load_u8 v1, v12, s[18:19]
	s_addc_u32 s15, s15, 0
	s_waitcnt vmcnt(0)
	v_and_b32_e32 v11, 0xffff, v1
	s_delay_alu instid0(VALU_DEP_1) | instskip(SKIP_3) | instid1(VALU_DEP_1)
	v_lshlrev_b64 v[1:2], s12, v[11:12]
	s_add_u32 s12, s12, 8
	s_addc_u32 s13, s13, 0
	s_cmp_lg_u32 s16, s14
	v_or_b32_e32 v19, v1, v19
	s_delay_alu instid0(VALU_DEP_2)
	v_or_b32_e32 v20, v2, v20
	s_cbranch_scc1 .LBB9_150
.LBB9_151:                              ;   in Loop: Header=BB9_145 Depth=1
	s_mov_b32 s17, 0
	s_cbranch_execz .LBB9_158
	s_branch .LBB9_159
.LBB9_152:                              ;   in Loop: Header=BB9_145 Depth=1
	v_mov_b32_e32 v17, 0
	v_mov_b32_e32 v18, 0
	s_cmp_eq_u64 s[6:7], 0
	s_mov_b64 s[0:1], 0
	s_cbranch_scc1 .LBB9_155
; %bb.153:                              ;   in Loop: Header=BB9_145 Depth=1
	v_mov_b32_e32 v17, 0
	v_mov_b32_e32 v18, 0
	s_lshl_b64 s[12:13], s[10:11], 3
	s_mov_b64 s[14:15], s[4:5]
.LBB9_154:                              ;   Parent Loop BB9_145 Depth=1
                                        ; =>  This Inner Loop Header: Depth=2
	global_load_u8 v1, v12, s[14:15]
	s_waitcnt vmcnt(0)
	v_and_b32_e32 v11, 0xffff, v1
	s_delay_alu instid0(VALU_DEP_1)
	v_lshlrev_b64 v[1:2], s0, v[11:12]
	s_add_u32 s0, s0, 8
	s_addc_u32 s1, s1, 0
	s_add_u32 s14, s14, 1
	s_addc_u32 s15, s15, 0
	s_cmp_lg_u32 s12, s0
	v_or_b32_e32 v17, v1, v17
	v_or_b32_e32 v18, v2, v18
	s_cbranch_scc1 .LBB9_154
.LBB9_155:                              ;   in Loop: Header=BB9_145 Depth=1
	s_mov_b32 s16, 0
	s_mov_b64 s[0:1], s[4:5]
	s_cbranch_execnz .LBB9_147
.LBB9_156:                              ;   in Loop: Header=BB9_145 Depth=1
	global_load_b64 v[17:18], v12, s[4:5]
	s_add_i32 s16, s10, -8
	s_add_u32 s0, s4, 8
	s_addc_u32 s1, s5, 0
	s_cmp_gt_u32 s16, 7
	s_cbranch_scc0 .LBB9_148
.LBB9_157:                              ;   in Loop: Header=BB9_145 Depth=1
                                        ; implicit-def: $vgpr19_vgpr20
                                        ; implicit-def: $sgpr17
.LBB9_158:                              ;   in Loop: Header=BB9_145 Depth=1
	global_load_b64 v[19:20], v12, s[0:1]
	s_add_i32 s17, s16, -8
	s_add_u32 s0, s0, 8
	s_addc_u32 s1, s1, 0
.LBB9_159:                              ;   in Loop: Header=BB9_145 Depth=1
	s_cmp_gt_u32 s17, 7
	s_cbranch_scc1 .LBB9_164
; %bb.160:                              ;   in Loop: Header=BB9_145 Depth=1
	v_mov_b32_e32 v21, 0
	v_mov_b32_e32 v22, 0
	s_cmp_eq_u32 s17, 0
	s_cbranch_scc1 .LBB9_163
; %bb.161:                              ;   in Loop: Header=BB9_145 Depth=1
	s_mov_b64 s[12:13], 0
	s_mov_b64 s[14:15], 0
.LBB9_162:                              ;   Parent Loop BB9_145 Depth=1
                                        ; =>  This Inner Loop Header: Depth=2
	s_delay_alu instid0(SALU_CYCLE_1)
	s_add_u32 s18, s0, s14
	s_addc_u32 s19, s1, s15
	s_add_u32 s14, s14, 1
	global_load_u8 v1, v12, s[18:19]
	s_addc_u32 s15, s15, 0
	s_waitcnt vmcnt(0)
	v_and_b32_e32 v11, 0xffff, v1
	s_delay_alu instid0(VALU_DEP_1) | instskip(SKIP_3) | instid1(VALU_DEP_1)
	v_lshlrev_b64 v[1:2], s12, v[11:12]
	s_add_u32 s12, s12, 8
	s_addc_u32 s13, s13, 0
	s_cmp_lg_u32 s17, s14
	v_or_b32_e32 v21, v1, v21
	s_delay_alu instid0(VALU_DEP_2)
	v_or_b32_e32 v22, v2, v22
	s_cbranch_scc1 .LBB9_162
.LBB9_163:                              ;   in Loop: Header=BB9_145 Depth=1
	s_mov_b32 s16, 0
	s_cbranch_execz .LBB9_165
	s_branch .LBB9_166
.LBB9_164:                              ;   in Loop: Header=BB9_145 Depth=1
                                        ; implicit-def: $sgpr16
.LBB9_165:                              ;   in Loop: Header=BB9_145 Depth=1
	global_load_b64 v[21:22], v12, s[0:1]
	s_add_i32 s16, s17, -8
	s_add_u32 s0, s0, 8
	s_addc_u32 s1, s1, 0
.LBB9_166:                              ;   in Loop: Header=BB9_145 Depth=1
	s_cmp_gt_u32 s16, 7
	s_cbranch_scc1 .LBB9_171
; %bb.167:                              ;   in Loop: Header=BB9_145 Depth=1
	v_mov_b32_e32 v23, 0
	v_mov_b32_e32 v24, 0
	s_cmp_eq_u32 s16, 0
	s_cbranch_scc1 .LBB9_170
; %bb.168:                              ;   in Loop: Header=BB9_145 Depth=1
	s_mov_b64 s[12:13], 0
	s_mov_b64 s[14:15], 0
.LBB9_169:                              ;   Parent Loop BB9_145 Depth=1
                                        ; =>  This Inner Loop Header: Depth=2
	s_delay_alu instid0(SALU_CYCLE_1)
	s_add_u32 s18, s0, s14
	s_addc_u32 s19, s1, s15
	s_add_u32 s14, s14, 1
	global_load_u8 v1, v12, s[18:19]
	s_addc_u32 s15, s15, 0
	s_waitcnt vmcnt(0)
	v_and_b32_e32 v11, 0xffff, v1
	s_delay_alu instid0(VALU_DEP_1) | instskip(SKIP_3) | instid1(VALU_DEP_1)
	v_lshlrev_b64 v[1:2], s12, v[11:12]
	s_add_u32 s12, s12, 8
	s_addc_u32 s13, s13, 0
	s_cmp_lg_u32 s16, s14
	v_or_b32_e32 v23, v1, v23
	s_delay_alu instid0(VALU_DEP_2)
	v_or_b32_e32 v24, v2, v24
	s_cbranch_scc1 .LBB9_169
.LBB9_170:                              ;   in Loop: Header=BB9_145 Depth=1
	s_mov_b32 s17, 0
	s_cbranch_execz .LBB9_172
	s_branch .LBB9_173
.LBB9_171:                              ;   in Loop: Header=BB9_145 Depth=1
                                        ; implicit-def: $vgpr23_vgpr24
                                        ; implicit-def: $sgpr17
.LBB9_172:                              ;   in Loop: Header=BB9_145 Depth=1
	global_load_b64 v[23:24], v12, s[0:1]
	s_add_i32 s17, s16, -8
	s_add_u32 s0, s0, 8
	s_addc_u32 s1, s1, 0
.LBB9_173:                              ;   in Loop: Header=BB9_145 Depth=1
	s_cmp_gt_u32 s17, 7
	s_cbranch_scc1 .LBB9_178
; %bb.174:                              ;   in Loop: Header=BB9_145 Depth=1
	v_mov_b32_e32 v25, 0
	v_mov_b32_e32 v26, 0
	s_cmp_eq_u32 s17, 0
	s_cbranch_scc1 .LBB9_177
; %bb.175:                              ;   in Loop: Header=BB9_145 Depth=1
	s_mov_b64 s[12:13], 0
	s_mov_b64 s[14:15], 0
.LBB9_176:                              ;   Parent Loop BB9_145 Depth=1
                                        ; =>  This Inner Loop Header: Depth=2
	s_delay_alu instid0(SALU_CYCLE_1)
	s_add_u32 s18, s0, s14
	s_addc_u32 s19, s1, s15
	s_add_u32 s14, s14, 1
	global_load_u8 v1, v12, s[18:19]
	s_addc_u32 s15, s15, 0
	s_waitcnt vmcnt(0)
	v_and_b32_e32 v11, 0xffff, v1
	s_delay_alu instid0(VALU_DEP_1) | instskip(SKIP_3) | instid1(VALU_DEP_1)
	v_lshlrev_b64 v[1:2], s12, v[11:12]
	s_add_u32 s12, s12, 8
	s_addc_u32 s13, s13, 0
	s_cmp_lg_u32 s17, s14
	v_or_b32_e32 v25, v1, v25
	s_delay_alu instid0(VALU_DEP_2)
	v_or_b32_e32 v26, v2, v26
	s_cbranch_scc1 .LBB9_176
.LBB9_177:                              ;   in Loop: Header=BB9_145 Depth=1
	s_mov_b32 s16, 0
	s_cbranch_execz .LBB9_179
	s_branch .LBB9_180
.LBB9_178:                              ;   in Loop: Header=BB9_145 Depth=1
                                        ; implicit-def: $sgpr16
.LBB9_179:                              ;   in Loop: Header=BB9_145 Depth=1
	global_load_b64 v[25:26], v12, s[0:1]
	s_add_i32 s16, s17, -8
	s_add_u32 s0, s0, 8
	s_addc_u32 s1, s1, 0
.LBB9_180:                              ;   in Loop: Header=BB9_145 Depth=1
	s_cmp_gt_u32 s16, 7
	s_cbranch_scc1 .LBB9_185
; %bb.181:                              ;   in Loop: Header=BB9_145 Depth=1
	v_mov_b32_e32 v27, 0
	v_mov_b32_e32 v28, 0
	s_cmp_eq_u32 s16, 0
	s_cbranch_scc1 .LBB9_184
; %bb.182:                              ;   in Loop: Header=BB9_145 Depth=1
	s_mov_b64 s[12:13], 0
	s_mov_b64 s[14:15], 0
.LBB9_183:                              ;   Parent Loop BB9_145 Depth=1
                                        ; =>  This Inner Loop Header: Depth=2
	s_delay_alu instid0(SALU_CYCLE_1)
	s_add_u32 s18, s0, s14
	s_addc_u32 s19, s1, s15
	s_add_u32 s14, s14, 1
	global_load_u8 v1, v12, s[18:19]
	s_addc_u32 s15, s15, 0
	s_waitcnt vmcnt(0)
	v_and_b32_e32 v11, 0xffff, v1
	s_delay_alu instid0(VALU_DEP_1) | instskip(SKIP_3) | instid1(VALU_DEP_1)
	v_lshlrev_b64 v[1:2], s12, v[11:12]
	s_add_u32 s12, s12, 8
	s_addc_u32 s13, s13, 0
	s_cmp_lg_u32 s16, s14
	v_or_b32_e32 v27, v1, v27
	s_delay_alu instid0(VALU_DEP_2)
	v_or_b32_e32 v28, v2, v28
	s_cbranch_scc1 .LBB9_183
.LBB9_184:                              ;   in Loop: Header=BB9_145 Depth=1
	s_mov_b32 s17, 0
	s_cbranch_execz .LBB9_186
	s_branch .LBB9_187
.LBB9_185:                              ;   in Loop: Header=BB9_145 Depth=1
                                        ; implicit-def: $vgpr27_vgpr28
                                        ; implicit-def: $sgpr17
.LBB9_186:                              ;   in Loop: Header=BB9_145 Depth=1
	global_load_b64 v[27:28], v12, s[0:1]
	s_add_i32 s17, s16, -8
	s_add_u32 s0, s0, 8
	s_addc_u32 s1, s1, 0
.LBB9_187:                              ;   in Loop: Header=BB9_145 Depth=1
	s_cmp_gt_u32 s17, 7
	s_cbranch_scc1 .LBB9_192
; %bb.188:                              ;   in Loop: Header=BB9_145 Depth=1
	v_mov_b32_e32 v29, 0
	v_mov_b32_e32 v30, 0
	s_cmp_eq_u32 s17, 0
	s_cbranch_scc1 .LBB9_191
; %bb.189:                              ;   in Loop: Header=BB9_145 Depth=1
	s_mov_b64 s[12:13], 0
	s_mov_b64 s[14:15], s[0:1]
.LBB9_190:                              ;   Parent Loop BB9_145 Depth=1
                                        ; =>  This Inner Loop Header: Depth=2
	global_load_u8 v1, v12, s[14:15]
	s_add_i32 s17, s17, -1
	s_waitcnt vmcnt(0)
	v_and_b32_e32 v11, 0xffff, v1
	s_delay_alu instid0(VALU_DEP_1)
	v_lshlrev_b64 v[1:2], s12, v[11:12]
	s_add_u32 s12, s12, 8
	s_addc_u32 s13, s13, 0
	s_add_u32 s14, s14, 1
	s_addc_u32 s15, s15, 0
	s_cmp_lg_u32 s17, 0
	v_or_b32_e32 v29, v1, v29
	v_or_b32_e32 v30, v2, v30
	s_cbranch_scc1 .LBB9_190
.LBB9_191:                              ;   in Loop: Header=BB9_145 Depth=1
	s_cbranch_execz .LBB9_193
	s_branch .LBB9_194
.LBB9_192:                              ;   in Loop: Header=BB9_145 Depth=1
.LBB9_193:                              ;   in Loop: Header=BB9_145 Depth=1
	global_load_b64 v[29:30], v12, s[0:1]
.LBB9_194:                              ;   in Loop: Header=BB9_145 Depth=1
	v_readfirstlane_b32 s0, v37
	v_mov_b32_e32 v1, 0
	v_mov_b32_e32 v2, 0
	s_delay_alu instid0(VALU_DEP_3) | instskip(NEXT) | instid1(VALU_DEP_1)
	v_cmp_eq_u32_e64 s0, s0, v37
	s_and_saveexec_b32 s1, s0
	s_cbranch_execz .LBB9_200
; %bb.195:                              ;   in Loop: Header=BB9_145 Depth=1
	global_load_b64 v[33:34], v12, s[2:3] offset:24 glc
	s_waitcnt vmcnt(0)
	buffer_gl1_inv
	buffer_gl0_inv
	s_clause 0x1
	global_load_b64 v[1:2], v12, s[2:3] offset:40
	global_load_b64 v[10:11], v12, s[2:3]
	s_mov_b32 s12, exec_lo
	s_waitcnt vmcnt(1)
	v_and_b32_e32 v2, v2, v34
	v_and_b32_e32 v1, v1, v33
	s_delay_alu instid0(VALU_DEP_2) | instskip(NEXT) | instid1(VALU_DEP_2)
	v_mul_lo_u32 v2, v2, 24
	v_mul_hi_u32 v15, v1, 24
	v_mul_lo_u32 v1, v1, 24
	s_delay_alu instid0(VALU_DEP_2) | instskip(SKIP_1) | instid1(VALU_DEP_2)
	v_add_nc_u32_e32 v2, v15, v2
	s_waitcnt vmcnt(0)
	v_add_co_u32 v1, vcc_lo, v10, v1
	s_delay_alu instid0(VALU_DEP_2)
	v_add_co_ci_u32_e32 v2, vcc_lo, v11, v2, vcc_lo
	global_load_b64 v[31:32], v[1:2], off glc
	s_waitcnt vmcnt(0)
	global_atomic_cmpswap_b64 v[1:2], v12, v[31:34], s[2:3] offset:24 glc
	s_waitcnt vmcnt(0)
	buffer_gl1_inv
	buffer_gl0_inv
	v_cmpx_ne_u64_e64 v[1:2], v[33:34]
	s_cbranch_execz .LBB9_199
; %bb.196:                              ;   in Loop: Header=BB9_145 Depth=1
	s_mov_b32 s13, 0
	.p2align	6
.LBB9_197:                              ;   Parent Loop BB9_145 Depth=1
                                        ; =>  This Inner Loop Header: Depth=2
	s_sleep 1
	s_clause 0x1
	global_load_b64 v[10:11], v12, s[2:3] offset:40
	global_load_b64 v[15:16], v12, s[2:3]
	v_dual_mov_b32 v34, v2 :: v_dual_mov_b32 v33, v1
	s_waitcnt vmcnt(1)
	s_delay_alu instid0(VALU_DEP_1) | instskip(SKIP_1) | instid1(VALU_DEP_1)
	v_and_b32_e32 v10, v10, v33
	s_waitcnt vmcnt(0)
	v_mad_u64_u32 v[1:2], null, v10, 24, v[15:16]
	v_and_b32_e32 v15, v11, v34
	s_delay_alu instid0(VALU_DEP_1) | instskip(NEXT) | instid1(VALU_DEP_1)
	v_mad_u64_u32 v[10:11], null, v15, 24, v[2:3]
	v_mov_b32_e32 v2, v10
	global_load_b64 v[31:32], v[1:2], off glc
	s_waitcnt vmcnt(0)
	global_atomic_cmpswap_b64 v[1:2], v12, v[31:34], s[2:3] offset:24 glc
	s_waitcnt vmcnt(0)
	buffer_gl1_inv
	buffer_gl0_inv
	v_cmp_eq_u64_e32 vcc_lo, v[1:2], v[33:34]
	s_or_b32 s13, vcc_lo, s13
	s_delay_alu instid0(SALU_CYCLE_1)
	s_and_not1_b32 exec_lo, exec_lo, s13
	s_cbranch_execnz .LBB9_197
; %bb.198:                              ;   in Loop: Header=BB9_145 Depth=1
	s_or_b32 exec_lo, exec_lo, s13
.LBB9_199:                              ;   in Loop: Header=BB9_145 Depth=1
	s_delay_alu instid0(SALU_CYCLE_1)
	s_or_b32 exec_lo, exec_lo, s12
.LBB9_200:                              ;   in Loop: Header=BB9_145 Depth=1
	s_delay_alu instid0(SALU_CYCLE_1)
	s_or_b32 exec_lo, exec_lo, s1
	s_clause 0x1
	global_load_b64 v[10:11], v12, s[2:3] offset:40
	global_load_b128 v[31:34], v12, s[2:3]
	v_readfirstlane_b32 s12, v1
	v_readfirstlane_b32 s13, v2
	s_mov_b32 s1, exec_lo
	s_waitcnt vmcnt(1)
	v_readfirstlane_b32 s14, v10
	v_readfirstlane_b32 s15, v11
	s_delay_alu instid0(VALU_DEP_1) | instskip(NEXT) | instid1(SALU_CYCLE_1)
	s_and_b64 s[14:15], s[12:13], s[14:15]
	s_mul_i32 s16, s15, 24
	s_mul_hi_u32 s17, s14, 24
	s_mul_i32 s18, s14, 24
	s_add_i32 s17, s17, s16
	s_waitcnt vmcnt(0)
	v_add_co_u32 v1, vcc_lo, v31, s18
	v_add_co_ci_u32_e32 v2, vcc_lo, s17, v32, vcc_lo
	s_and_saveexec_b32 s16, s0
	s_cbranch_execz .LBB9_202
; %bb.201:                              ;   in Loop: Header=BB9_145 Depth=1
	v_mov_b32_e32 v11, s1
	global_store_b128 v[1:2], v[11:14], off offset:8
.LBB9_202:                              ;   in Loop: Header=BB9_145 Depth=1
	s_or_b32 exec_lo, exec_lo, s16
	s_lshl_b64 s[14:15], s[14:15], 12
	v_cmp_gt_u64_e64 vcc_lo, s[6:7], 56
	v_or_b32_e32 v11, v8, v3
	v_add_co_u32 v33, s1, v33, s14
	s_delay_alu instid0(VALU_DEP_1)
	v_add_co_ci_u32_e64 v34, s1, s15, v34, s1
	s_lshl_b32 s1, s10, 2
	v_or_b32_e32 v10, 0, v9
	v_cndmask_b32_e32 v8, v11, v8, vcc_lo
	s_add_i32 s1, s1, 28
	v_readfirstlane_b32 s14, v33
	s_and_b32 s1, s1, 0x1e0
	v_cndmask_b32_e32 v16, v10, v9, vcc_lo
	v_readfirstlane_b32 s15, v34
	v_and_or_b32 v15, 0xffffff1f, v8, s1
	s_clause 0x3
	global_store_b128 v36, v[15:18], s[14:15]
	global_store_b128 v36, v[19:22], s[14:15] offset:16
	global_store_b128 v36, v[23:26], s[14:15] offset:32
	;; [unrolled: 1-line block ×3, first 2 shown]
	s_and_saveexec_b32 s1, s0
	s_cbranch_execz .LBB9_210
; %bb.203:                              ;   in Loop: Header=BB9_145 Depth=1
	s_clause 0x1
	global_load_b64 v[19:20], v12, s[2:3] offset:32 glc
	global_load_b64 v[8:9], v12, s[2:3] offset:40
	v_dual_mov_b32 v17, s12 :: v_dual_mov_b32 v18, s13
	s_waitcnt vmcnt(0)
	v_readfirstlane_b32 s14, v8
	v_readfirstlane_b32 s15, v9
	s_delay_alu instid0(VALU_DEP_1) | instskip(NEXT) | instid1(SALU_CYCLE_1)
	s_and_b64 s[14:15], s[14:15], s[12:13]
	s_mul_i32 s15, s15, 24
	s_mul_hi_u32 s16, s14, 24
	s_mul_i32 s14, s14, 24
	s_add_i32 s16, s16, s15
	v_add_co_u32 v15, vcc_lo, v31, s14
	v_add_co_ci_u32_e32 v16, vcc_lo, s16, v32, vcc_lo
	s_mov_b32 s14, exec_lo
	global_store_b64 v[15:16], v[19:20], off
	s_waitcnt_vscnt null, 0x0
	global_atomic_cmpswap_b64 v[10:11], v12, v[17:20], s[2:3] offset:32 glc
	s_waitcnt vmcnt(0)
	v_cmpx_ne_u64_e64 v[10:11], v[19:20]
	s_cbranch_execz .LBB9_206
; %bb.204:                              ;   in Loop: Header=BB9_145 Depth=1
	s_mov_b32 s15, 0
.LBB9_205:                              ;   Parent Loop BB9_145 Depth=1
                                        ; =>  This Inner Loop Header: Depth=2
	v_dual_mov_b32 v8, s12 :: v_dual_mov_b32 v9, s13
	s_sleep 1
	global_store_b64 v[15:16], v[10:11], off
	s_waitcnt_vscnt null, 0x0
	global_atomic_cmpswap_b64 v[8:9], v12, v[8:11], s[2:3] offset:32 glc
	s_waitcnt vmcnt(0)
	v_cmp_eq_u64_e32 vcc_lo, v[8:9], v[10:11]
	v_dual_mov_b32 v11, v9 :: v_dual_mov_b32 v10, v8
	s_or_b32 s15, vcc_lo, s15
	s_delay_alu instid0(SALU_CYCLE_1)
	s_and_not1_b32 exec_lo, exec_lo, s15
	s_cbranch_execnz .LBB9_205
.LBB9_206:                              ;   in Loop: Header=BB9_145 Depth=1
	s_or_b32 exec_lo, exec_lo, s14
	global_load_b64 v[8:9], v12, s[2:3] offset:16
	s_mov_b32 s15, exec_lo
	s_mov_b32 s14, exec_lo
	v_mbcnt_lo_u32_b32 v10, s15, 0
	s_delay_alu instid0(VALU_DEP_1)
	v_cmpx_eq_u32_e32 0, v10
	s_cbranch_execz .LBB9_208
; %bb.207:                              ;   in Loop: Header=BB9_145 Depth=1
	s_bcnt1_i32_b32 s15, s15
	s_delay_alu instid0(SALU_CYCLE_1)
	v_mov_b32_e32 v11, s15
	s_waitcnt vmcnt(0)
	global_atomic_add_u64 v[8:9], v[11:12], off offset:8
.LBB9_208:                              ;   in Loop: Header=BB9_145 Depth=1
	s_or_b32 exec_lo, exec_lo, s14
	s_waitcnt vmcnt(0)
	global_load_b64 v[15:16], v[8:9], off offset:16
	s_waitcnt vmcnt(0)
	v_cmp_eq_u64_e32 vcc_lo, 0, v[15:16]
	s_cbranch_vccnz .LBB9_210
; %bb.209:                              ;   in Loop: Header=BB9_145 Depth=1
	global_load_b32 v11, v[8:9], off offset:24
	s_waitcnt vmcnt(0)
	v_and_b32_e32 v8, 0xffffff, v11
	s_waitcnt_vscnt null, 0x0
	global_store_b64 v[15:16], v[11:12], off
	v_readfirstlane_b32 m0, v8
	s_sendmsg sendmsg(MSG_INTERRUPT)
.LBB9_210:                              ;   in Loop: Header=BB9_145 Depth=1
	s_or_b32 exec_lo, exec_lo, s1
	v_add_co_u32 v8, vcc_lo, v33, v36
	v_add_co_ci_u32_e32 v9, vcc_lo, 0, v34, vcc_lo
	s_branch .LBB9_214
	.p2align	6
.LBB9_211:                              ;   in Loop: Header=BB9_214 Depth=2
	s_or_b32 exec_lo, exec_lo, s1
	s_delay_alu instid0(VALU_DEP_1) | instskip(NEXT) | instid1(VALU_DEP_1)
	v_readfirstlane_b32 s1, v10
	s_cmp_eq_u32 s1, 0
	s_cbranch_scc1 .LBB9_213
; %bb.212:                              ;   in Loop: Header=BB9_214 Depth=2
	s_sleep 1
	s_cbranch_execnz .LBB9_214
	s_branch .LBB9_216
	.p2align	6
.LBB9_213:                              ;   in Loop: Header=BB9_145 Depth=1
	s_branch .LBB9_216
.LBB9_214:                              ;   Parent Loop BB9_145 Depth=1
                                        ; =>  This Inner Loop Header: Depth=2
	v_mov_b32_e32 v10, 1
	s_and_saveexec_b32 s1, s0
	s_cbranch_execz .LBB9_211
; %bb.215:                              ;   in Loop: Header=BB9_214 Depth=2
	global_load_b32 v10, v[1:2], off offset:20 glc
	s_waitcnt vmcnt(0)
	buffer_gl1_inv
	buffer_gl0_inv
	v_and_b32_e32 v10, 1, v10
	s_branch .LBB9_211
.LBB9_216:                              ;   in Loop: Header=BB9_145 Depth=1
	global_load_b128 v[8:11], v[8:9], off
	s_and_saveexec_b32 s1, s0
	s_cbranch_execz .LBB9_144
; %bb.217:                              ;   in Loop: Header=BB9_145 Depth=1
	s_clause 0x2
	global_load_b64 v[1:2], v12, s[2:3] offset:40
	global_load_b64 v[10:11], v12, s[2:3] offset:24 glc
	global_load_b64 v[17:18], v12, s[2:3]
	s_waitcnt vmcnt(2)
	v_add_co_u32 v19, vcc_lo, v1, 1
	v_add_co_ci_u32_e32 v20, vcc_lo, 0, v2, vcc_lo
	s_delay_alu instid0(VALU_DEP_2) | instskip(NEXT) | instid1(VALU_DEP_2)
	v_add_co_u32 v15, vcc_lo, v19, s12
	v_add_co_ci_u32_e32 v16, vcc_lo, s13, v20, vcc_lo
	s_delay_alu instid0(VALU_DEP_1) | instskip(SKIP_1) | instid1(VALU_DEP_1)
	v_cmp_eq_u64_e32 vcc_lo, 0, v[15:16]
	v_dual_cndmask_b32 v16, v16, v20 :: v_dual_cndmask_b32 v15, v15, v19
	v_and_b32_e32 v2, v16, v2
	s_delay_alu instid0(VALU_DEP_2) | instskip(NEXT) | instid1(VALU_DEP_1)
	v_and_b32_e32 v1, v15, v1
	v_mul_hi_u32 v19, v1, 24
	v_mul_lo_u32 v1, v1, 24
	s_waitcnt vmcnt(0)
	s_delay_alu instid0(VALU_DEP_1) | instskip(SKIP_2) | instid1(VALU_DEP_1)
	v_add_co_u32 v1, vcc_lo, v17, v1
	v_mov_b32_e32 v17, v10
	v_mul_lo_u32 v2, v2, 24
	v_add_nc_u32_e32 v2, v19, v2
	s_delay_alu instid0(VALU_DEP_1)
	v_add_co_ci_u32_e32 v2, vcc_lo, v18, v2, vcc_lo
	v_mov_b32_e32 v18, v11
	global_store_b64 v[1:2], v[10:11], off
	s_waitcnt_vscnt null, 0x0
	global_atomic_cmpswap_b64 v[17:18], v12, v[15:18], s[2:3] offset:24 glc
	s_waitcnt vmcnt(0)
	v_cmp_ne_u64_e32 vcc_lo, v[17:18], v[10:11]
	s_and_b32 exec_lo, exec_lo, vcc_lo
	s_cbranch_execz .LBB9_144
; %bb.218:                              ;   in Loop: Header=BB9_145 Depth=1
	s_mov_b32 s0, 0
.LBB9_219:                              ;   Parent Loop BB9_145 Depth=1
                                        ; =>  This Inner Loop Header: Depth=2
	s_sleep 1
	global_store_b64 v[1:2], v[17:18], off
	s_waitcnt_vscnt null, 0x0
	global_atomic_cmpswap_b64 v[10:11], v12, v[15:18], s[2:3] offset:24 glc
	s_waitcnt vmcnt(0)
	v_cmp_eq_u64_e32 vcc_lo, v[10:11], v[17:18]
	v_dual_mov_b32 v18, v11 :: v_dual_mov_b32 v17, v10
	s_or_b32 s0, vcc_lo, s0
	s_delay_alu instid0(SALU_CYCLE_1)
	s_and_not1_b32 exec_lo, exec_lo, s0
	s_cbranch_execnz .LBB9_219
	s_branch .LBB9_144
.LBB9_220:
                                        ; implicit-def: $vgpr8_vgpr9
	s_cbranch_execnz .LBB9_222
	s_branch .LBB9_249
.LBB9_221:
	s_branch .LBB9_249
.LBB9_222:
	v_readfirstlane_b32 s0, v37
	v_mov_b32_e32 v1, 0
	v_mov_b32_e32 v2, 0
	s_delay_alu instid0(VALU_DEP_3) | instskip(NEXT) | instid1(VALU_DEP_1)
	v_cmp_eq_u32_e64 s0, s0, v37
	s_and_saveexec_b32 s1, s0
	s_cbranch_execz .LBB9_228
; %bb.223:
	v_mov_b32_e32 v3, 0
	s_mov_b32 s4, exec_lo
	global_load_b64 v[10:11], v3, s[2:3] offset:24 glc
	s_waitcnt vmcnt(0)
	buffer_gl1_inv
	buffer_gl0_inv
	s_clause 0x1
	global_load_b64 v[1:2], v3, s[2:3] offset:40
	global_load_b64 v[8:9], v3, s[2:3]
	s_waitcnt vmcnt(1)
	v_and_b32_e32 v2, v2, v11
	v_and_b32_e32 v1, v1, v10
	s_delay_alu instid0(VALU_DEP_2) | instskip(NEXT) | instid1(VALU_DEP_2)
	v_mul_lo_u32 v2, v2, 24
	v_mul_hi_u32 v12, v1, 24
	v_mul_lo_u32 v1, v1, 24
	s_delay_alu instid0(VALU_DEP_2) | instskip(SKIP_1) | instid1(VALU_DEP_2)
	v_add_nc_u32_e32 v2, v12, v2
	s_waitcnt vmcnt(0)
	v_add_co_u32 v1, vcc_lo, v8, v1
	s_delay_alu instid0(VALU_DEP_2)
	v_add_co_ci_u32_e32 v2, vcc_lo, v9, v2, vcc_lo
	global_load_b64 v[8:9], v[1:2], off glc
	s_waitcnt vmcnt(0)
	global_atomic_cmpswap_b64 v[1:2], v3, v[8:11], s[2:3] offset:24 glc
	s_waitcnt vmcnt(0)
	buffer_gl1_inv
	buffer_gl0_inv
	v_cmpx_ne_u64_e64 v[1:2], v[10:11]
	s_cbranch_execz .LBB9_227
; %bb.224:
	s_mov_b32 s5, 0
	.p2align	6
.LBB9_225:                              ; =>This Inner Loop Header: Depth=1
	s_sleep 1
	s_clause 0x1
	global_load_b64 v[8:9], v3, s[2:3] offset:40
	global_load_b64 v[12:13], v3, s[2:3]
	v_dual_mov_b32 v11, v2 :: v_dual_mov_b32 v10, v1
	s_waitcnt vmcnt(1)
	s_delay_alu instid0(VALU_DEP_1) | instskip(SKIP_1) | instid1(VALU_DEP_1)
	v_and_b32_e32 v8, v8, v10
	s_waitcnt vmcnt(0)
	v_mad_u64_u32 v[1:2], null, v8, 24, v[12:13]
	v_and_b32_e32 v12, v9, v11
	s_delay_alu instid0(VALU_DEP_1) | instskip(NEXT) | instid1(VALU_DEP_1)
	v_mad_u64_u32 v[8:9], null, v12, 24, v[2:3]
	v_mov_b32_e32 v2, v8
	global_load_b64 v[8:9], v[1:2], off glc
	s_waitcnt vmcnt(0)
	global_atomic_cmpswap_b64 v[1:2], v3, v[8:11], s[2:3] offset:24 glc
	s_waitcnt vmcnt(0)
	buffer_gl1_inv
	buffer_gl0_inv
	v_cmp_eq_u64_e32 vcc_lo, v[1:2], v[10:11]
	s_or_b32 s5, vcc_lo, s5
	s_delay_alu instid0(SALU_CYCLE_1)
	s_and_not1_b32 exec_lo, exec_lo, s5
	s_cbranch_execnz .LBB9_225
; %bb.226:
	s_or_b32 exec_lo, exec_lo, s5
.LBB9_227:
	s_delay_alu instid0(SALU_CYCLE_1)
	s_or_b32 exec_lo, exec_lo, s4
.LBB9_228:
	s_delay_alu instid0(SALU_CYCLE_1)
	s_or_b32 exec_lo, exec_lo, s1
	s_waitcnt vmcnt(0)
	v_mov_b32_e32 v8, 0
	v_readfirstlane_b32 s4, v1
	v_readfirstlane_b32 s5, v2
	s_mov_b32 s1, exec_lo
	s_clause 0x1
	global_load_b64 v[14:15], v8, s[2:3] offset:40
	global_load_b128 v[10:13], v8, s[2:3]
	s_waitcnt vmcnt(1)
	v_readfirstlane_b32 s6, v14
	v_readfirstlane_b32 s7, v15
	s_delay_alu instid0(VALU_DEP_1) | instskip(NEXT) | instid1(SALU_CYCLE_1)
	s_and_b64 s[6:7], s[4:5], s[6:7]
	s_mul_i32 s10, s7, 24
	s_mul_hi_u32 s11, s6, 24
	s_mul_i32 s12, s6, 24
	s_add_i32 s11, s11, s10
	s_waitcnt vmcnt(0)
	v_add_co_u32 v1, vcc_lo, v10, s12
	v_add_co_ci_u32_e32 v2, vcc_lo, s11, v11, vcc_lo
	s_and_saveexec_b32 s10, s0
	s_cbranch_execz .LBB9_230
; %bb.229:
	v_dual_mov_b32 v14, s1 :: v_dual_mov_b32 v15, v8
	v_dual_mov_b32 v16, 2 :: v_dual_mov_b32 v17, 1
	global_store_b128 v[1:2], v[14:17], off offset:8
.LBB9_230:
	s_or_b32 exec_lo, exec_lo, s10
	s_lshl_b64 s[6:7], s[6:7], 12
	s_mov_b32 s12, 0
	v_add_co_u32 v3, vcc_lo, v12, s6
	v_add_co_ci_u32_e32 v13, vcc_lo, s7, v13, vcc_lo
	s_mov_b32 s15, s12
	s_delay_alu instid0(VALU_DEP_2)
	v_add_co_u32 v12, vcc_lo, v3, v36
	s_mov_b32 s13, s12
	s_mov_b32 s14, s12
	v_and_or_b32 v6, 0xffffff1f, v6, 32
	v_mov_b32_e32 v9, v8
	v_readfirstlane_b32 s6, v3
	v_readfirstlane_b32 s7, v13
	v_dual_mov_b32 v17, s15 :: v_dual_mov_b32 v14, s12
	v_add_co_ci_u32_e32 v13, vcc_lo, 0, v13, vcc_lo
	v_dual_mov_b32 v16, s14 :: v_dual_mov_b32 v15, s13
	s_clause 0x3
	global_store_b128 v36, v[6:9], s[6:7]
	global_store_b128 v36, v[14:17], s[6:7] offset:16
	global_store_b128 v36, v[14:17], s[6:7] offset:32
	;; [unrolled: 1-line block ×3, first 2 shown]
	s_and_saveexec_b32 s1, s0
	s_cbranch_execz .LBB9_238
; %bb.231:
	v_dual_mov_b32 v3, 0 :: v_dual_mov_b32 v14, s4
	v_mov_b32_e32 v15, s5
	s_clause 0x1
	global_load_b64 v[16:17], v3, s[2:3] offset:32 glc
	global_load_b64 v[6:7], v3, s[2:3] offset:40
	s_waitcnt vmcnt(0)
	v_readfirstlane_b32 s6, v6
	v_readfirstlane_b32 s7, v7
	s_delay_alu instid0(VALU_DEP_1) | instskip(NEXT) | instid1(SALU_CYCLE_1)
	s_and_b64 s[6:7], s[6:7], s[4:5]
	s_mul_i32 s7, s7, 24
	s_mul_hi_u32 s10, s6, 24
	s_mul_i32 s6, s6, 24
	s_add_i32 s10, s10, s7
	v_add_co_u32 v10, vcc_lo, v10, s6
	v_add_co_ci_u32_e32 v11, vcc_lo, s10, v11, vcc_lo
	s_mov_b32 s6, exec_lo
	global_store_b64 v[10:11], v[16:17], off
	s_waitcnt_vscnt null, 0x0
	global_atomic_cmpswap_b64 v[8:9], v3, v[14:17], s[2:3] offset:32 glc
	s_waitcnt vmcnt(0)
	v_cmpx_ne_u64_e64 v[8:9], v[16:17]
	s_cbranch_execz .LBB9_234
; %bb.232:
	s_mov_b32 s7, 0
.LBB9_233:                              ; =>This Inner Loop Header: Depth=1
	v_dual_mov_b32 v6, s4 :: v_dual_mov_b32 v7, s5
	s_sleep 1
	global_store_b64 v[10:11], v[8:9], off
	s_waitcnt_vscnt null, 0x0
	global_atomic_cmpswap_b64 v[6:7], v3, v[6:9], s[2:3] offset:32 glc
	s_waitcnt vmcnt(0)
	v_cmp_eq_u64_e32 vcc_lo, v[6:7], v[8:9]
	v_dual_mov_b32 v9, v7 :: v_dual_mov_b32 v8, v6
	s_or_b32 s7, vcc_lo, s7
	s_delay_alu instid0(SALU_CYCLE_1)
	s_and_not1_b32 exec_lo, exec_lo, s7
	s_cbranch_execnz .LBB9_233
.LBB9_234:
	s_or_b32 exec_lo, exec_lo, s6
	v_mov_b32_e32 v9, 0
	s_mov_b32 s7, exec_lo
	s_mov_b32 s6, exec_lo
	v_mbcnt_lo_u32_b32 v3, s7, 0
	global_load_b64 v[6:7], v9, s[2:3] offset:16
	v_cmpx_eq_u32_e32 0, v3
	s_cbranch_execz .LBB9_236
; %bb.235:
	s_bcnt1_i32_b32 s7, s7
	s_delay_alu instid0(SALU_CYCLE_1)
	v_mov_b32_e32 v8, s7
	s_waitcnt vmcnt(0)
	global_atomic_add_u64 v[6:7], v[8:9], off offset:8
.LBB9_236:
	s_or_b32 exec_lo, exec_lo, s6
	s_waitcnt vmcnt(0)
	global_load_b64 v[8:9], v[6:7], off offset:16
	s_waitcnt vmcnt(0)
	v_cmp_eq_u64_e32 vcc_lo, 0, v[8:9]
	s_cbranch_vccnz .LBB9_238
; %bb.237:
	global_load_b32 v6, v[6:7], off offset:24
	v_mov_b32_e32 v7, 0
	s_waitcnt vmcnt(0)
	v_and_b32_e32 v3, 0xffffff, v6
	s_waitcnt_vscnt null, 0x0
	global_store_b64 v[8:9], v[6:7], off
	v_readfirstlane_b32 m0, v3
	s_sendmsg sendmsg(MSG_INTERRUPT)
.LBB9_238:
	s_or_b32 exec_lo, exec_lo, s1
	s_branch .LBB9_242
	.p2align	6
.LBB9_239:                              ;   in Loop: Header=BB9_242 Depth=1
	s_or_b32 exec_lo, exec_lo, s1
	s_delay_alu instid0(VALU_DEP_1) | instskip(NEXT) | instid1(VALU_DEP_1)
	v_readfirstlane_b32 s1, v3
	s_cmp_eq_u32 s1, 0
	s_cbranch_scc1 .LBB9_241
; %bb.240:                              ;   in Loop: Header=BB9_242 Depth=1
	s_sleep 1
	s_cbranch_execnz .LBB9_242
	s_branch .LBB9_244
	.p2align	6
.LBB9_241:
	s_branch .LBB9_244
.LBB9_242:                              ; =>This Inner Loop Header: Depth=1
	v_mov_b32_e32 v3, 1
	s_and_saveexec_b32 s1, s0
	s_cbranch_execz .LBB9_239
; %bb.243:                              ;   in Loop: Header=BB9_242 Depth=1
	global_load_b32 v3, v[1:2], off offset:20 glc
	s_waitcnt vmcnt(0)
	buffer_gl1_inv
	buffer_gl0_inv
	v_and_b32_e32 v3, 1, v3
	s_branch .LBB9_239
.LBB9_244:
	global_load_b64 v[8:9], v[12:13], off
	s_and_saveexec_b32 s1, s0
	s_cbranch_execz .LBB9_248
; %bb.245:
	v_mov_b32_e32 v3, 0
	s_clause 0x2
	global_load_b64 v[1:2], v3, s[2:3] offset:40
	global_load_b64 v[6:7], v3, s[2:3] offset:24 glc
	global_load_b64 v[12:13], v3, s[2:3]
	s_waitcnt vmcnt(2)
	v_add_co_u32 v14, vcc_lo, v1, 1
	v_add_co_ci_u32_e32 v15, vcc_lo, 0, v2, vcc_lo
	s_delay_alu instid0(VALU_DEP_2) | instskip(NEXT) | instid1(VALU_DEP_2)
	v_add_co_u32 v10, vcc_lo, v14, s4
	v_add_co_ci_u32_e32 v11, vcc_lo, s5, v15, vcc_lo
	s_delay_alu instid0(VALU_DEP_1) | instskip(SKIP_1) | instid1(VALU_DEP_1)
	v_cmp_eq_u64_e32 vcc_lo, 0, v[10:11]
	v_cndmask_b32_e32 v10, v10, v14, vcc_lo
	v_and_b32_e32 v1, v10, v1
	s_delay_alu instid0(VALU_DEP_1) | instskip(SKIP_2) | instid1(VALU_DEP_2)
	v_mul_hi_u32 v14, v1, 24
	v_cndmask_b32_e32 v11, v11, v15, vcc_lo
	v_mul_lo_u32 v1, v1, 24
	v_and_b32_e32 v2, v11, v2
	s_waitcnt vmcnt(0)
	s_delay_alu instid0(VALU_DEP_2) | instskip(NEXT) | instid1(VALU_DEP_2)
	v_add_co_u32 v1, vcc_lo, v12, v1
	v_mul_lo_u32 v2, v2, 24
	v_mov_b32_e32 v12, v6
	s_delay_alu instid0(VALU_DEP_2) | instskip(NEXT) | instid1(VALU_DEP_1)
	v_add_nc_u32_e32 v2, v14, v2
	v_add_co_ci_u32_e32 v2, vcc_lo, v13, v2, vcc_lo
	v_mov_b32_e32 v13, v7
	global_store_b64 v[1:2], v[6:7], off
	s_waitcnt_vscnt null, 0x0
	global_atomic_cmpswap_b64 v[12:13], v3, v[10:13], s[2:3] offset:24 glc
	s_waitcnt vmcnt(0)
	v_cmp_ne_u64_e32 vcc_lo, v[12:13], v[6:7]
	s_and_b32 exec_lo, exec_lo, vcc_lo
	s_cbranch_execz .LBB9_248
; %bb.246:
	s_mov_b32 s0, 0
.LBB9_247:                              ; =>This Inner Loop Header: Depth=1
	s_sleep 1
	global_store_b64 v[1:2], v[12:13], off
	s_waitcnt_vscnt null, 0x0
	global_atomic_cmpswap_b64 v[6:7], v3, v[10:13], s[2:3] offset:24 glc
	s_waitcnt vmcnt(0)
	v_cmp_eq_u64_e32 vcc_lo, v[6:7], v[12:13]
	v_dual_mov_b32 v13, v7 :: v_dual_mov_b32 v12, v6
	s_or_b32 s0, vcc_lo, s0
	s_delay_alu instid0(SALU_CYCLE_1)
	s_and_not1_b32 exec_lo, exec_lo, s0
	s_cbranch_execnz .LBB9_247
.LBB9_248:
	s_or_b32 exec_lo, exec_lo, s1
.LBB9_249:
	v_readfirstlane_b32 s0, v37
	v_mov_b32_e32 v1, 0
	v_mov_b32_e32 v2, 0
	s_delay_alu instid0(VALU_DEP_3) | instskip(NEXT) | instid1(VALU_DEP_1)
	v_cmp_eq_u32_e64 s0, s0, v37
	s_and_saveexec_b32 s1, s0
	s_cbranch_execz .LBB9_255
; %bb.250:
	v_mov_b32_e32 v3, 0
	s_mov_b32 s4, exec_lo
	global_load_b64 v[12:13], v3, s[2:3] offset:24 glc
	s_waitcnt vmcnt(0)
	buffer_gl1_inv
	buffer_gl0_inv
	s_clause 0x1
	global_load_b64 v[1:2], v3, s[2:3] offset:40
	global_load_b64 v[6:7], v3, s[2:3]
	s_waitcnt vmcnt(1)
	v_and_b32_e32 v2, v2, v13
	v_and_b32_e32 v1, v1, v12
	s_delay_alu instid0(VALU_DEP_2) | instskip(NEXT) | instid1(VALU_DEP_2)
	v_mul_lo_u32 v2, v2, 24
	v_mul_hi_u32 v10, v1, 24
	v_mul_lo_u32 v1, v1, 24
	s_delay_alu instid0(VALU_DEP_2) | instskip(SKIP_1) | instid1(VALU_DEP_2)
	v_add_nc_u32_e32 v2, v10, v2
	s_waitcnt vmcnt(0)
	v_add_co_u32 v1, vcc_lo, v6, v1
	s_delay_alu instid0(VALU_DEP_2)
	v_add_co_ci_u32_e32 v2, vcc_lo, v7, v2, vcc_lo
	global_load_b64 v[10:11], v[1:2], off glc
	s_waitcnt vmcnt(0)
	global_atomic_cmpswap_b64 v[1:2], v3, v[10:13], s[2:3] offset:24 glc
	s_waitcnt vmcnt(0)
	buffer_gl1_inv
	buffer_gl0_inv
	v_cmpx_ne_u64_e64 v[1:2], v[12:13]
	s_cbranch_execz .LBB9_254
; %bb.251:
	s_mov_b32 s5, 0
	.p2align	6
.LBB9_252:                              ; =>This Inner Loop Header: Depth=1
	s_sleep 1
	s_clause 0x1
	global_load_b64 v[6:7], v3, s[2:3] offset:40
	global_load_b64 v[10:11], v3, s[2:3]
	v_dual_mov_b32 v13, v2 :: v_dual_mov_b32 v12, v1
	s_waitcnt vmcnt(1)
	s_delay_alu instid0(VALU_DEP_1) | instskip(SKIP_1) | instid1(VALU_DEP_1)
	v_and_b32_e32 v6, v6, v12
	s_waitcnt vmcnt(0)
	v_mad_u64_u32 v[1:2], null, v6, 24, v[10:11]
	v_and_b32_e32 v10, v7, v13
	s_delay_alu instid0(VALU_DEP_1) | instskip(NEXT) | instid1(VALU_DEP_1)
	v_mad_u64_u32 v[6:7], null, v10, 24, v[2:3]
	v_mov_b32_e32 v2, v6
	global_load_b64 v[10:11], v[1:2], off glc
	s_waitcnt vmcnt(0)
	global_atomic_cmpswap_b64 v[1:2], v3, v[10:13], s[2:3] offset:24 glc
	s_waitcnt vmcnt(0)
	buffer_gl1_inv
	buffer_gl0_inv
	v_cmp_eq_u64_e32 vcc_lo, v[1:2], v[12:13]
	s_or_b32 s5, vcc_lo, s5
	s_delay_alu instid0(SALU_CYCLE_1)
	s_and_not1_b32 exec_lo, exec_lo, s5
	s_cbranch_execnz .LBB9_252
; %bb.253:
	s_or_b32 exec_lo, exec_lo, s5
.LBB9_254:
	s_delay_alu instid0(SALU_CYCLE_1)
	s_or_b32 exec_lo, exec_lo, s4
.LBB9_255:
	s_delay_alu instid0(SALU_CYCLE_1)
	s_or_b32 exec_lo, exec_lo, s1
	s_waitcnt vmcnt(0)
	v_mov_b32_e32 v11, 0
	v_readfirstlane_b32 s4, v1
	v_readfirstlane_b32 s5, v2
	s_mov_b32 s1, exec_lo
	s_clause 0x1
	global_load_b64 v[6:7], v11, s[2:3] offset:40
	global_load_b128 v[12:15], v11, s[2:3]
	s_waitcnt vmcnt(1)
	v_readfirstlane_b32 s6, v6
	v_readfirstlane_b32 s7, v7
	s_delay_alu instid0(VALU_DEP_1) | instskip(NEXT) | instid1(SALU_CYCLE_1)
	s_and_b64 s[6:7], s[4:5], s[6:7]
	s_mul_i32 s10, s7, 24
	s_mul_hi_u32 s11, s6, 24
	s_mul_i32 s12, s6, 24
	s_add_i32 s11, s11, s10
	s_waitcnt vmcnt(0)
	v_add_co_u32 v6, vcc_lo, v12, s12
	v_add_co_ci_u32_e32 v7, vcc_lo, s11, v13, vcc_lo
	s_and_saveexec_b32 s10, s0
	s_cbranch_execz .LBB9_257
; %bb.256:
	v_dual_mov_b32 v10, s1 :: v_dual_mov_b32 v19, 1
	v_dual_mov_b32 v18, 2 :: v_dual_mov_b32 v17, v11
	s_delay_alu instid0(VALU_DEP_2)
	v_mov_b32_e32 v16, v10
	global_store_b128 v[6:7], v[16:19], off offset:8
.LBB9_257:
	s_or_b32 exec_lo, exec_lo, s10
	s_lshl_b64 s[6:7], s[6:7], 12
	s_mov_b32 s12, 0
	v_add_co_u32 v14, vcc_lo, v14, s6
	v_add_co_ci_u32_e32 v15, vcc_lo, s7, v15, vcc_lo
	s_mov_b32 s13, s12
	s_delay_alu instid0(VALU_DEP_2)
	v_readfirstlane_b32 s6, v14
	v_add_co_u32 v14, vcc_lo, v14, v36
	s_mov_b32 s14, s12
	s_mov_b32 s15, s12
	v_and_or_b32 v8, 0xffffff1f, v8, 32
	v_mov_b32_e32 v10, v0
	v_readfirstlane_b32 s7, v15
	v_dual_mov_b32 v0, s12 :: v_dual_mov_b32 v3, s15
	v_add_co_ci_u32_e32 v15, vcc_lo, 0, v15, vcc_lo
	v_dual_mov_b32 v1, s13 :: v_dual_mov_b32 v2, s14
	s_clause 0x3
	global_store_b128 v36, v[8:11], s[6:7]
	global_store_b128 v36, v[0:3], s[6:7] offset:16
	global_store_b128 v36, v[0:3], s[6:7] offset:32
	;; [unrolled: 1-line block ×3, first 2 shown]
	s_and_saveexec_b32 s1, s0
	s_cbranch_execz .LBB9_265
; %bb.258:
	v_dual_mov_b32 v10, 0 :: v_dual_mov_b32 v17, s5
	v_mov_b32_e32 v16, s4
	s_clause 0x1
	global_load_b64 v[18:19], v10, s[2:3] offset:32 glc
	global_load_b64 v[0:1], v10, s[2:3] offset:40
	s_waitcnt vmcnt(0)
	v_readfirstlane_b32 s6, v0
	v_readfirstlane_b32 s7, v1
	s_delay_alu instid0(VALU_DEP_1) | instskip(NEXT) | instid1(SALU_CYCLE_1)
	s_and_b64 s[6:7], s[6:7], s[4:5]
	s_mul_i32 s7, s7, 24
	s_mul_hi_u32 s10, s6, 24
	s_mul_i32 s6, s6, 24
	s_add_i32 s10, s10, s7
	v_add_co_u32 v8, vcc_lo, v12, s6
	v_add_co_ci_u32_e32 v9, vcc_lo, s10, v13, vcc_lo
	s_mov_b32 s6, exec_lo
	global_store_b64 v[8:9], v[18:19], off
	s_waitcnt_vscnt null, 0x0
	global_atomic_cmpswap_b64 v[2:3], v10, v[16:19], s[2:3] offset:32 glc
	s_waitcnt vmcnt(0)
	v_cmpx_ne_u64_e64 v[2:3], v[18:19]
	s_cbranch_execz .LBB9_261
; %bb.259:
	s_mov_b32 s7, 0
.LBB9_260:                              ; =>This Inner Loop Header: Depth=1
	v_dual_mov_b32 v0, s4 :: v_dual_mov_b32 v1, s5
	s_sleep 1
	global_store_b64 v[8:9], v[2:3], off
	s_waitcnt_vscnt null, 0x0
	global_atomic_cmpswap_b64 v[0:1], v10, v[0:3], s[2:3] offset:32 glc
	s_waitcnt vmcnt(0)
	v_cmp_eq_u64_e32 vcc_lo, v[0:1], v[2:3]
	v_dual_mov_b32 v3, v1 :: v_dual_mov_b32 v2, v0
	s_or_b32 s7, vcc_lo, s7
	s_delay_alu instid0(SALU_CYCLE_1)
	s_and_not1_b32 exec_lo, exec_lo, s7
	s_cbranch_execnz .LBB9_260
.LBB9_261:
	s_or_b32 exec_lo, exec_lo, s6
	v_mov_b32_e32 v3, 0
	s_mov_b32 s7, exec_lo
	s_mov_b32 s6, exec_lo
	v_mbcnt_lo_u32_b32 v2, s7, 0
	global_load_b64 v[0:1], v3, s[2:3] offset:16
	v_cmpx_eq_u32_e32 0, v2
	s_cbranch_execz .LBB9_263
; %bb.262:
	s_bcnt1_i32_b32 s7, s7
	s_delay_alu instid0(SALU_CYCLE_1)
	v_mov_b32_e32 v2, s7
	s_waitcnt vmcnt(0)
	global_atomic_add_u64 v[0:1], v[2:3], off offset:8
.LBB9_263:
	s_or_b32 exec_lo, exec_lo, s6
	s_waitcnt vmcnt(0)
	global_load_b64 v[2:3], v[0:1], off offset:16
	s_waitcnt vmcnt(0)
	v_cmp_eq_u64_e32 vcc_lo, 0, v[2:3]
	s_cbranch_vccnz .LBB9_265
; %bb.264:
	global_load_b32 v0, v[0:1], off offset:24
	s_waitcnt vmcnt(0)
	v_dual_mov_b32 v1, 0 :: v_dual_and_b32 v8, 0xffffff, v0
	s_waitcnt_vscnt null, 0x0
	global_store_b64 v[2:3], v[0:1], off
	v_readfirstlane_b32 m0, v8
	s_sendmsg sendmsg(MSG_INTERRUPT)
.LBB9_265:
	s_or_b32 exec_lo, exec_lo, s1
	s_branch .LBB9_269
	.p2align	6
.LBB9_266:                              ;   in Loop: Header=BB9_269 Depth=1
	s_or_b32 exec_lo, exec_lo, s1
	s_delay_alu instid0(VALU_DEP_1) | instskip(NEXT) | instid1(VALU_DEP_1)
	v_readfirstlane_b32 s1, v0
	s_cmp_eq_u32 s1, 0
	s_cbranch_scc1 .LBB9_268
; %bb.267:                              ;   in Loop: Header=BB9_269 Depth=1
	s_sleep 1
	s_cbranch_execnz .LBB9_269
	s_branch .LBB9_271
	.p2align	6
.LBB9_268:
	s_branch .LBB9_271
.LBB9_269:                              ; =>This Inner Loop Header: Depth=1
	v_mov_b32_e32 v0, 1
	s_and_saveexec_b32 s1, s0
	s_cbranch_execz .LBB9_266
; %bb.270:                              ;   in Loop: Header=BB9_269 Depth=1
	global_load_b32 v0, v[6:7], off offset:20 glc
	s_waitcnt vmcnt(0)
	buffer_gl1_inv
	buffer_gl0_inv
	v_and_b32_e32 v0, 1, v0
	s_branch .LBB9_266
.LBB9_271:
	global_load_b64 v[0:1], v[14:15], off
	s_and_saveexec_b32 s1, s0
	s_cbranch_execz .LBB9_275
; %bb.272:
	v_mov_b32_e32 v10, 0
	s_clause 0x2
	global_load_b64 v[2:3], v10, s[2:3] offset:40
	global_load_b64 v[11:12], v10, s[2:3] offset:24 glc
	global_load_b64 v[8:9], v10, s[2:3]
	s_waitcnt vmcnt(2)
	v_add_co_u32 v13, vcc_lo, v2, 1
	v_add_co_ci_u32_e32 v14, vcc_lo, 0, v3, vcc_lo
	s_delay_alu instid0(VALU_DEP_2) | instskip(NEXT) | instid1(VALU_DEP_2)
	v_add_co_u32 v6, vcc_lo, v13, s4
	v_add_co_ci_u32_e32 v7, vcc_lo, s5, v14, vcc_lo
	s_delay_alu instid0(VALU_DEP_1) | instskip(SKIP_1) | instid1(VALU_DEP_1)
	v_cmp_eq_u64_e32 vcc_lo, 0, v[6:7]
	v_dual_cndmask_b32 v7, v7, v14 :: v_dual_cndmask_b32 v6, v6, v13
	v_and_b32_e32 v3, v7, v3
	s_delay_alu instid0(VALU_DEP_2) | instskip(NEXT) | instid1(VALU_DEP_2)
	v_and_b32_e32 v2, v6, v2
	v_mul_lo_u32 v3, v3, 24
	s_delay_alu instid0(VALU_DEP_2) | instskip(SKIP_1) | instid1(VALU_DEP_2)
	v_mul_hi_u32 v13, v2, 24
	v_mul_lo_u32 v2, v2, 24
	v_add_nc_u32_e32 v3, v13, v3
	s_waitcnt vmcnt(0)
	s_delay_alu instid0(VALU_DEP_2) | instskip(SKIP_1) | instid1(VALU_DEP_3)
	v_add_co_u32 v2, vcc_lo, v8, v2
	v_mov_b32_e32 v8, v11
	v_add_co_ci_u32_e32 v3, vcc_lo, v9, v3, vcc_lo
	v_mov_b32_e32 v9, v12
	global_store_b64 v[2:3], v[11:12], off
	s_waitcnt_vscnt null, 0x0
	global_atomic_cmpswap_b64 v[8:9], v10, v[6:9], s[2:3] offset:24 glc
	s_waitcnt vmcnt(0)
	v_cmp_ne_u64_e32 vcc_lo, v[8:9], v[11:12]
	s_and_b32 exec_lo, exec_lo, vcc_lo
	s_cbranch_execz .LBB9_275
; %bb.273:
	s_mov_b32 s0, 0
.LBB9_274:                              ; =>This Inner Loop Header: Depth=1
	s_sleep 1
	global_store_b64 v[2:3], v[8:9], off
	s_waitcnt_vscnt null, 0x0
	global_atomic_cmpswap_b64 v[11:12], v10, v[6:9], s[2:3] offset:24 glc
	s_waitcnt vmcnt(0)
	v_cmp_eq_u64_e32 vcc_lo, v[11:12], v[8:9]
	v_dual_mov_b32 v8, v11 :: v_dual_mov_b32 v9, v12
	s_or_b32 s0, vcc_lo, s0
	s_delay_alu instid0(SALU_CYCLE_1)
	s_and_not1_b32 exec_lo, exec_lo, s0
	s_cbranch_execnz .LBB9_274
.LBB9_275:
	s_or_b32 exec_lo, exec_lo, s1
	v_dual_mov_b32 v7, v5 :: v_dual_mov_b32 v6, v4
	s_mov_b32 s0, 0
.LBB9_276:                              ; =>This Inner Loop Header: Depth=1
	flat_load_u8 v8, v[6:7]
	v_add_co_u32 v2, vcc_lo, v6, 1
	v_add_co_ci_u32_e32 v3, vcc_lo, 0, v7, vcc_lo
	s_delay_alu instid0(VALU_DEP_1) | instskip(SKIP_3) | instid1(SALU_CYCLE_1)
	v_dual_mov_b32 v7, v3 :: v_dual_mov_b32 v6, v2
	s_waitcnt vmcnt(0) lgkmcnt(0)
	v_cmp_eq_u16_e32 vcc_lo, 0, v8
	s_or_b32 s0, vcc_lo, s0
	s_and_not1_b32 exec_lo, exec_lo, s0
	s_cbranch_execnz .LBB9_276
; %bb.277:
	s_or_b32 exec_lo, exec_lo, s0
	s_delay_alu instid0(SALU_CYCLE_1)
	s_mov_b32 s0, exec_lo
	v_cmpx_ne_u64_e32 0, v[4:5]
	s_xor_b32 s10, exec_lo, s0
	s_cbranch_execz .LBB9_363
; %bb.278:
	v_sub_nc_u32_e32 v26, v2, v4
	v_dual_mov_b32 v7, 0 :: v_dual_and_b32 v32, 2, v0
	v_dual_mov_b32 v9, 1 :: v_dual_and_b32 v0, -3, v0
	v_mov_b32_e32 v8, 2
	s_delay_alu instid0(VALU_DEP_4)
	v_ashrrev_i32_e32 v27, 31, v26
	s_mov_b32 s12, 0
	s_mov_b32 s11, 0
	s_branch .LBB9_280
.LBB9_279:                              ;   in Loop: Header=BB9_280 Depth=1
	s_or_b32 exec_lo, exec_lo, s1
	v_sub_co_u32 v26, vcc_lo, v26, v28
	v_sub_co_ci_u32_e32 v27, vcc_lo, v27, v29, vcc_lo
	v_add_co_u32 v4, s0, v4, v28
	s_delay_alu instid0(VALU_DEP_1) | instskip(NEXT) | instid1(VALU_DEP_3)
	v_add_co_ci_u32_e64 v5, s0, v5, v29, s0
	v_cmp_eq_u64_e32 vcc_lo, 0, v[26:27]
	s_or_b32 s11, vcc_lo, s11
	s_delay_alu instid0(SALU_CYCLE_1)
	s_and_not1_b32 exec_lo, exec_lo, s11
	s_cbranch_execz .LBB9_362
.LBB9_280:                              ; =>This Loop Header: Depth=1
                                        ;     Child Loop BB9_283 Depth 2
                                        ;     Child Loop BB9_291 Depth 2
                                        ;     Child Loop BB9_299 Depth 2
                                        ;     Child Loop BB9_307 Depth 2
                                        ;     Child Loop BB9_315 Depth 2
                                        ;     Child Loop BB9_323 Depth 2
                                        ;     Child Loop BB9_331 Depth 2
                                        ;     Child Loop BB9_339 Depth 2
                                        ;     Child Loop BB9_347 Depth 2
                                        ;     Child Loop BB9_356 Depth 2
                                        ;     Child Loop BB9_361 Depth 2
	s_delay_alu instid0(VALU_DEP_1)
	v_cmp_gt_u64_e32 vcc_lo, 56, v[26:27]
	s_mov_b32 s1, exec_lo
                                        ; implicit-def: $vgpr2_vgpr3
                                        ; implicit-def: $sgpr4
	v_dual_cndmask_b32 v29, 0, v27 :: v_dual_cndmask_b32 v28, 56, v26
	v_cmpx_gt_u64_e32 8, v[26:27]
	s_xor_b32 s1, exec_lo, s1
	s_cbranch_execz .LBB9_286
; %bb.281:                              ;   in Loop: Header=BB9_280 Depth=1
	s_waitcnt vmcnt(0)
	v_mov_b32_e32 v2, 0
	v_mov_b32_e32 v3, 0
	s_mov_b64 s[4:5], 0
	s_mov_b32 s6, exec_lo
	v_cmpx_ne_u64_e32 0, v[26:27]
	s_cbranch_execz .LBB9_285
; %bb.282:                              ;   in Loop: Header=BB9_280 Depth=1
	v_lshlrev_b64 v[10:11], 3, v[28:29]
	v_mov_b32_e32 v2, 0
	v_dual_mov_b32 v3, 0 :: v_dual_mov_b32 v12, v5
	v_mov_b32_e32 v11, v4
	s_mov_b32 s7, 0
	.p2align	6
.LBB9_283:                              ;   Parent Loop BB9_280 Depth=1
                                        ; =>  This Inner Loop Header: Depth=2
	flat_load_u8 v6, v[11:12]
	v_mov_b32_e32 v14, s12
	v_add_co_u32 v11, vcc_lo, v11, 1
	v_add_co_ci_u32_e32 v12, vcc_lo, 0, v12, vcc_lo
	s_waitcnt vmcnt(0) lgkmcnt(0)
	v_and_b32_e32 v13, 0xffff, v6
	s_delay_alu instid0(VALU_DEP_1) | instskip(SKIP_3) | instid1(VALU_DEP_2)
	v_lshlrev_b64 v[13:14], s4, v[13:14]
	s_add_u32 s4, s4, 8
	s_addc_u32 s5, s5, 0
	v_cmp_eq_u32_e64 s0, s4, v10
	v_or_b32_e32 v3, v14, v3
	s_delay_alu instid0(VALU_DEP_3) | instskip(NEXT) | instid1(VALU_DEP_3)
	v_or_b32_e32 v2, v13, v2
	s_or_b32 s7, s0, s7
	s_delay_alu instid0(SALU_CYCLE_1)
	s_and_not1_b32 exec_lo, exec_lo, s7
	s_cbranch_execnz .LBB9_283
; %bb.284:                              ;   in Loop: Header=BB9_280 Depth=1
	s_or_b32 exec_lo, exec_lo, s7
.LBB9_285:                              ;   in Loop: Header=BB9_280 Depth=1
	s_delay_alu instid0(SALU_CYCLE_1)
	s_or_b32 exec_lo, exec_lo, s6
	s_mov_b32 s4, 0
.LBB9_286:                              ;   in Loop: Header=BB9_280 Depth=1
	s_or_saveexec_b32 s0, s1
	v_dual_mov_b32 v6, s4 :: v_dual_mov_b32 v23, v5
	v_mov_b32_e32 v22, v4
	s_xor_b32 exec_lo, exec_lo, s0
	s_cbranch_execz .LBB9_288
; %bb.287:                              ;   in Loop: Header=BB9_280 Depth=1
	s_waitcnt vmcnt(0)
	flat_load_b64 v[2:3], v[4:5]
	v_add_co_u32 v22, vcc_lo, v4, 8
	v_add_co_ci_u32_e32 v23, vcc_lo, 0, v5, vcc_lo
	s_waitcnt vmcnt(0) lgkmcnt(0)
	v_and_b32_e32 v6, 0xff, v3
	v_and_b32_e32 v10, 0xff00, v3
	;; [unrolled: 1-line block ×4, first 2 shown]
	v_or3_b32 v2, v2, 0, 0
	s_delay_alu instid0(VALU_DEP_4) | instskip(SKIP_1) | instid1(VALU_DEP_2)
	v_or_b32_e32 v10, v6, v10
	v_add_nc_u32_e32 v6, -8, v28
	v_or3_b32 v3, v10, v11, v3
.LBB9_288:                              ;   in Loop: Header=BB9_280 Depth=1
	s_or_b32 exec_lo, exec_lo, s0
                                        ; implicit-def: $vgpr10_vgpr11
                                        ; implicit-def: $sgpr1
	s_delay_alu instid0(SALU_CYCLE_1) | instskip(NEXT) | instid1(VALU_DEP_2)
	s_mov_b32 s0, exec_lo
	v_cmpx_gt_u32_e32 8, v6
	s_xor_b32 s6, exec_lo, s0
	s_cbranch_execz .LBB9_294
; %bb.289:                              ;   in Loop: Header=BB9_280 Depth=1
	v_mov_b32_e32 v10, 0
	v_mov_b32_e32 v11, 0
	s_mov_b32 s7, exec_lo
	v_cmpx_ne_u32_e32 0, v6
	s_cbranch_execz .LBB9_293
; %bb.290:                              ;   in Loop: Header=BB9_280 Depth=1
	v_mov_b32_e32 v10, 0
	v_mov_b32_e32 v11, 0
	s_mov_b64 s[0:1], 0
	s_mov_b32 s13, 0
	s_mov_b64 s[4:5], 0
	.p2align	6
.LBB9_291:                              ;   Parent Loop BB9_280 Depth=1
                                        ; =>  This Inner Loop Header: Depth=2
	s_delay_alu instid0(SALU_CYCLE_1)
	v_add_co_u32 v12, vcc_lo, v22, s4
	v_add_co_ci_u32_e32 v13, vcc_lo, s5, v23, vcc_lo
	s_add_u32 s4, s4, 1
	s_addc_u32 s5, s5, 0
	v_cmp_eq_u32_e32 vcc_lo, s4, v6
	flat_load_u8 v12, v[12:13]
	s_waitcnt vmcnt(0) lgkmcnt(0)
	v_dual_mov_b32 v13, s12 :: v_dual_and_b32 v12, 0xffff, v12
	s_delay_alu instid0(VALU_DEP_1) | instskip(SKIP_3) | instid1(VALU_DEP_1)
	v_lshlrev_b64 v[12:13], s0, v[12:13]
	s_add_u32 s0, s0, 8
	s_addc_u32 s1, s1, 0
	s_or_b32 s13, vcc_lo, s13
	v_or_b32_e32 v11, v13, v11
	s_delay_alu instid0(VALU_DEP_2)
	v_or_b32_e32 v10, v12, v10
	s_and_not1_b32 exec_lo, exec_lo, s13
	s_cbranch_execnz .LBB9_291
; %bb.292:                              ;   in Loop: Header=BB9_280 Depth=1
	s_or_b32 exec_lo, exec_lo, s13
.LBB9_293:                              ;   in Loop: Header=BB9_280 Depth=1
	s_delay_alu instid0(SALU_CYCLE_1)
	s_or_b32 exec_lo, exec_lo, s7
	s_mov_b32 s1, 0
                                        ; implicit-def: $vgpr6
.LBB9_294:                              ;   in Loop: Header=BB9_280 Depth=1
	s_or_saveexec_b32 s0, s6
	v_mov_b32_e32 v14, s1
	s_xor_b32 exec_lo, exec_lo, s0
	s_cbranch_execz .LBB9_296
; %bb.295:                              ;   in Loop: Header=BB9_280 Depth=1
	flat_load_b64 v[10:11], v[22:23]
	v_add_co_u32 v22, vcc_lo, v22, 8
	v_add_nc_u32_e32 v14, -8, v6
	v_add_co_ci_u32_e32 v23, vcc_lo, 0, v23, vcc_lo
	s_waitcnt vmcnt(0) lgkmcnt(0)
	v_and_b32_e32 v12, 0xff, v11
	v_and_b32_e32 v13, 0xff00, v11
	;; [unrolled: 1-line block ×4, first 2 shown]
	v_or3_b32 v10, v10, 0, 0
	s_delay_alu instid0(VALU_DEP_4) | instskip(NEXT) | instid1(VALU_DEP_1)
	v_or_b32_e32 v12, v12, v13
	v_or3_b32 v11, v12, v15, v11
.LBB9_296:                              ;   in Loop: Header=BB9_280 Depth=1
	s_or_b32 exec_lo, exec_lo, s0
                                        ; implicit-def: $sgpr1
	s_delay_alu instid0(SALU_CYCLE_1)
	s_mov_b32 s0, exec_lo
	v_cmpx_gt_u32_e32 8, v14
	s_xor_b32 s6, exec_lo, s0
	s_cbranch_execz .LBB9_302
; %bb.297:                              ;   in Loop: Header=BB9_280 Depth=1
	v_mov_b32_e32 v12, 0
	v_mov_b32_e32 v13, 0
	s_mov_b32 s7, exec_lo
	v_cmpx_ne_u32_e32 0, v14
	s_cbranch_execz .LBB9_301
; %bb.298:                              ;   in Loop: Header=BB9_280 Depth=1
	v_mov_b32_e32 v12, 0
	v_mov_b32_e32 v13, 0
	s_mov_b64 s[0:1], 0
	s_mov_b32 s13, 0
	s_mov_b64 s[4:5], 0
	.p2align	6
.LBB9_299:                              ;   Parent Loop BB9_280 Depth=1
                                        ; =>  This Inner Loop Header: Depth=2
	s_delay_alu instid0(SALU_CYCLE_1)
	v_add_co_u32 v15, vcc_lo, v22, s4
	v_add_co_ci_u32_e32 v16, vcc_lo, s5, v23, vcc_lo
	s_add_u32 s4, s4, 1
	s_addc_u32 s5, s5, 0
	v_cmp_eq_u32_e32 vcc_lo, s4, v14
	flat_load_u8 v6, v[15:16]
	s_waitcnt vmcnt(0) lgkmcnt(0)
	v_dual_mov_b32 v16, s12 :: v_dual_and_b32 v15, 0xffff, v6
	s_delay_alu instid0(VALU_DEP_1) | instskip(SKIP_3) | instid1(VALU_DEP_1)
	v_lshlrev_b64 v[15:16], s0, v[15:16]
	s_add_u32 s0, s0, 8
	s_addc_u32 s1, s1, 0
	s_or_b32 s13, vcc_lo, s13
	v_or_b32_e32 v13, v16, v13
	s_delay_alu instid0(VALU_DEP_2)
	v_or_b32_e32 v12, v15, v12
	s_and_not1_b32 exec_lo, exec_lo, s13
	s_cbranch_execnz .LBB9_299
; %bb.300:                              ;   in Loop: Header=BB9_280 Depth=1
	s_or_b32 exec_lo, exec_lo, s13
.LBB9_301:                              ;   in Loop: Header=BB9_280 Depth=1
	s_delay_alu instid0(SALU_CYCLE_1)
	s_or_b32 exec_lo, exec_lo, s7
	s_mov_b32 s1, 0
                                        ; implicit-def: $vgpr14
.LBB9_302:                              ;   in Loop: Header=BB9_280 Depth=1
	s_or_saveexec_b32 s0, s6
	v_mov_b32_e32 v6, s1
	s_xor_b32 exec_lo, exec_lo, s0
	s_cbranch_execz .LBB9_304
; %bb.303:                              ;   in Loop: Header=BB9_280 Depth=1
	flat_load_b64 v[12:13], v[22:23]
	v_add_co_u32 v22, vcc_lo, v22, 8
	v_add_co_ci_u32_e32 v23, vcc_lo, 0, v23, vcc_lo
	s_waitcnt vmcnt(0) lgkmcnt(0)
	v_and_b32_e32 v6, 0xff, v13
	v_and_b32_e32 v15, 0xff00, v13
	;; [unrolled: 1-line block ×4, first 2 shown]
	v_or3_b32 v12, v12, 0, 0
	s_delay_alu instid0(VALU_DEP_4) | instskip(SKIP_1) | instid1(VALU_DEP_2)
	v_or_b32_e32 v15, v6, v15
	v_add_nc_u32_e32 v6, -8, v14
	v_or3_b32 v13, v15, v16, v13
.LBB9_304:                              ;   in Loop: Header=BB9_280 Depth=1
	s_or_b32 exec_lo, exec_lo, s0
                                        ; implicit-def: $vgpr14_vgpr15
                                        ; implicit-def: $sgpr1
	s_delay_alu instid0(SALU_CYCLE_1) | instskip(NEXT) | instid1(VALU_DEP_1)
	s_mov_b32 s0, exec_lo
	v_cmpx_gt_u32_e32 8, v6
	s_xor_b32 s6, exec_lo, s0
	s_cbranch_execz .LBB9_310
; %bb.305:                              ;   in Loop: Header=BB9_280 Depth=1
	v_mov_b32_e32 v14, 0
	v_mov_b32_e32 v15, 0
	s_mov_b32 s7, exec_lo
	v_cmpx_ne_u32_e32 0, v6
	s_cbranch_execz .LBB9_309
; %bb.306:                              ;   in Loop: Header=BB9_280 Depth=1
	v_mov_b32_e32 v14, 0
	v_mov_b32_e32 v15, 0
	s_mov_b64 s[0:1], 0
	s_mov_b32 s13, 0
	s_mov_b64 s[4:5], 0
	.p2align	6
.LBB9_307:                              ;   Parent Loop BB9_280 Depth=1
                                        ; =>  This Inner Loop Header: Depth=2
	s_delay_alu instid0(SALU_CYCLE_1)
	v_add_co_u32 v16, vcc_lo, v22, s4
	v_add_co_ci_u32_e32 v17, vcc_lo, s5, v23, vcc_lo
	s_add_u32 s4, s4, 1
	s_addc_u32 s5, s5, 0
	v_cmp_eq_u32_e32 vcc_lo, s4, v6
	flat_load_u8 v16, v[16:17]
	s_waitcnt vmcnt(0) lgkmcnt(0)
	v_dual_mov_b32 v17, s12 :: v_dual_and_b32 v16, 0xffff, v16
	s_delay_alu instid0(VALU_DEP_1) | instskip(SKIP_3) | instid1(VALU_DEP_1)
	v_lshlrev_b64 v[16:17], s0, v[16:17]
	s_add_u32 s0, s0, 8
	s_addc_u32 s1, s1, 0
	s_or_b32 s13, vcc_lo, s13
	v_or_b32_e32 v15, v17, v15
	s_delay_alu instid0(VALU_DEP_2)
	v_or_b32_e32 v14, v16, v14
	s_and_not1_b32 exec_lo, exec_lo, s13
	s_cbranch_execnz .LBB9_307
; %bb.308:                              ;   in Loop: Header=BB9_280 Depth=1
	s_or_b32 exec_lo, exec_lo, s13
.LBB9_309:                              ;   in Loop: Header=BB9_280 Depth=1
	s_delay_alu instid0(SALU_CYCLE_1)
	s_or_b32 exec_lo, exec_lo, s7
	s_mov_b32 s1, 0
                                        ; implicit-def: $vgpr6
.LBB9_310:                              ;   in Loop: Header=BB9_280 Depth=1
	s_or_saveexec_b32 s0, s6
	v_mov_b32_e32 v18, s1
	s_xor_b32 exec_lo, exec_lo, s0
	s_cbranch_execz .LBB9_312
; %bb.311:                              ;   in Loop: Header=BB9_280 Depth=1
	flat_load_b64 v[14:15], v[22:23]
	v_add_co_u32 v22, vcc_lo, v22, 8
	v_add_nc_u32_e32 v18, -8, v6
	v_add_co_ci_u32_e32 v23, vcc_lo, 0, v23, vcc_lo
	s_waitcnt vmcnt(0) lgkmcnt(0)
	v_and_b32_e32 v16, 0xff, v15
	v_and_b32_e32 v17, 0xff00, v15
	;; [unrolled: 1-line block ×4, first 2 shown]
	v_or3_b32 v14, v14, 0, 0
	s_delay_alu instid0(VALU_DEP_4) | instskip(NEXT) | instid1(VALU_DEP_1)
	v_or_b32_e32 v16, v16, v17
	v_or3_b32 v15, v16, v19, v15
.LBB9_312:                              ;   in Loop: Header=BB9_280 Depth=1
	s_or_b32 exec_lo, exec_lo, s0
                                        ; implicit-def: $sgpr1
	s_delay_alu instid0(SALU_CYCLE_1)
	s_mov_b32 s0, exec_lo
	v_cmpx_gt_u32_e32 8, v18
	s_xor_b32 s6, exec_lo, s0
	s_cbranch_execz .LBB9_318
; %bb.313:                              ;   in Loop: Header=BB9_280 Depth=1
	v_mov_b32_e32 v16, 0
	v_mov_b32_e32 v17, 0
	s_mov_b32 s7, exec_lo
	v_cmpx_ne_u32_e32 0, v18
	s_cbranch_execz .LBB9_317
; %bb.314:                              ;   in Loop: Header=BB9_280 Depth=1
	v_mov_b32_e32 v16, 0
	v_mov_b32_e32 v17, 0
	s_mov_b64 s[0:1], 0
	s_mov_b32 s13, 0
	s_mov_b64 s[4:5], 0
	.p2align	6
.LBB9_315:                              ;   Parent Loop BB9_280 Depth=1
                                        ; =>  This Inner Loop Header: Depth=2
	s_delay_alu instid0(SALU_CYCLE_1)
	v_add_co_u32 v19, vcc_lo, v22, s4
	v_add_co_ci_u32_e32 v20, vcc_lo, s5, v23, vcc_lo
	s_add_u32 s4, s4, 1
	s_addc_u32 s5, s5, 0
	v_cmp_eq_u32_e32 vcc_lo, s4, v18
	flat_load_u8 v6, v[19:20]
	s_waitcnt vmcnt(0) lgkmcnt(0)
	v_dual_mov_b32 v20, s12 :: v_dual_and_b32 v19, 0xffff, v6
	s_delay_alu instid0(VALU_DEP_1) | instskip(SKIP_3) | instid1(VALU_DEP_1)
	v_lshlrev_b64 v[19:20], s0, v[19:20]
	s_add_u32 s0, s0, 8
	s_addc_u32 s1, s1, 0
	s_or_b32 s13, vcc_lo, s13
	v_or_b32_e32 v17, v20, v17
	s_delay_alu instid0(VALU_DEP_2)
	v_or_b32_e32 v16, v19, v16
	s_and_not1_b32 exec_lo, exec_lo, s13
	s_cbranch_execnz .LBB9_315
; %bb.316:                              ;   in Loop: Header=BB9_280 Depth=1
	s_or_b32 exec_lo, exec_lo, s13
.LBB9_317:                              ;   in Loop: Header=BB9_280 Depth=1
	s_delay_alu instid0(SALU_CYCLE_1)
	s_or_b32 exec_lo, exec_lo, s7
	s_mov_b32 s1, 0
                                        ; implicit-def: $vgpr18
.LBB9_318:                              ;   in Loop: Header=BB9_280 Depth=1
	s_or_saveexec_b32 s0, s6
	v_mov_b32_e32 v6, s1
	s_xor_b32 exec_lo, exec_lo, s0
	s_cbranch_execz .LBB9_320
; %bb.319:                              ;   in Loop: Header=BB9_280 Depth=1
	flat_load_b64 v[16:17], v[22:23]
	v_add_co_u32 v22, vcc_lo, v22, 8
	v_add_co_ci_u32_e32 v23, vcc_lo, 0, v23, vcc_lo
	s_waitcnt vmcnt(0) lgkmcnt(0)
	v_and_b32_e32 v6, 0xff, v17
	v_and_b32_e32 v19, 0xff00, v17
	;; [unrolled: 1-line block ×4, first 2 shown]
	v_or3_b32 v16, v16, 0, 0
	s_delay_alu instid0(VALU_DEP_4) | instskip(SKIP_1) | instid1(VALU_DEP_2)
	v_or_b32_e32 v19, v6, v19
	v_add_nc_u32_e32 v6, -8, v18
	v_or3_b32 v17, v19, v20, v17
.LBB9_320:                              ;   in Loop: Header=BB9_280 Depth=1
	s_or_b32 exec_lo, exec_lo, s0
                                        ; implicit-def: $vgpr18_vgpr19
                                        ; implicit-def: $sgpr1
	s_delay_alu instid0(SALU_CYCLE_1) | instskip(NEXT) | instid1(VALU_DEP_1)
	s_mov_b32 s0, exec_lo
	v_cmpx_gt_u32_e32 8, v6
	s_xor_b32 s6, exec_lo, s0
	s_cbranch_execz .LBB9_326
; %bb.321:                              ;   in Loop: Header=BB9_280 Depth=1
	v_mov_b32_e32 v18, 0
	v_mov_b32_e32 v19, 0
	s_mov_b32 s7, exec_lo
	v_cmpx_ne_u32_e32 0, v6
	s_cbranch_execz .LBB9_325
; %bb.322:                              ;   in Loop: Header=BB9_280 Depth=1
	v_mov_b32_e32 v18, 0
	v_mov_b32_e32 v19, 0
	s_mov_b64 s[0:1], 0
	s_mov_b32 s13, 0
	s_mov_b64 s[4:5], 0
	.p2align	6
.LBB9_323:                              ;   Parent Loop BB9_280 Depth=1
                                        ; =>  This Inner Loop Header: Depth=2
	s_delay_alu instid0(SALU_CYCLE_1)
	v_add_co_u32 v20, vcc_lo, v22, s4
	v_add_co_ci_u32_e32 v21, vcc_lo, s5, v23, vcc_lo
	s_add_u32 s4, s4, 1
	s_addc_u32 s5, s5, 0
	v_cmp_eq_u32_e32 vcc_lo, s4, v6
	flat_load_u8 v20, v[20:21]
	s_waitcnt vmcnt(0) lgkmcnt(0)
	v_dual_mov_b32 v21, s12 :: v_dual_and_b32 v20, 0xffff, v20
	s_delay_alu instid0(VALU_DEP_1) | instskip(SKIP_3) | instid1(VALU_DEP_1)
	v_lshlrev_b64 v[20:21], s0, v[20:21]
	s_add_u32 s0, s0, 8
	s_addc_u32 s1, s1, 0
	s_or_b32 s13, vcc_lo, s13
	v_or_b32_e32 v19, v21, v19
	s_delay_alu instid0(VALU_DEP_2)
	v_or_b32_e32 v18, v20, v18
	s_and_not1_b32 exec_lo, exec_lo, s13
	s_cbranch_execnz .LBB9_323
; %bb.324:                              ;   in Loop: Header=BB9_280 Depth=1
	s_or_b32 exec_lo, exec_lo, s13
.LBB9_325:                              ;   in Loop: Header=BB9_280 Depth=1
	s_delay_alu instid0(SALU_CYCLE_1)
	s_or_b32 exec_lo, exec_lo, s7
	s_mov_b32 s1, 0
                                        ; implicit-def: $vgpr6
.LBB9_326:                              ;   in Loop: Header=BB9_280 Depth=1
	s_or_saveexec_b32 s0, s6
	v_mov_b32_e32 v24, s1
	s_xor_b32 exec_lo, exec_lo, s0
	s_cbranch_execz .LBB9_328
; %bb.327:                              ;   in Loop: Header=BB9_280 Depth=1
	flat_load_b64 v[18:19], v[22:23]
	v_add_co_u32 v22, vcc_lo, v22, 8
	v_add_nc_u32_e32 v24, -8, v6
	v_add_co_ci_u32_e32 v23, vcc_lo, 0, v23, vcc_lo
	s_waitcnt vmcnt(0) lgkmcnt(0)
	v_and_b32_e32 v20, 0xff, v19
	v_and_b32_e32 v21, 0xff00, v19
	v_and_b32_e32 v25, 0xff0000, v19
	v_and_b32_e32 v19, 0xff000000, v19
	v_or3_b32 v18, v18, 0, 0
	s_delay_alu instid0(VALU_DEP_4) | instskip(NEXT) | instid1(VALU_DEP_1)
	v_or_b32_e32 v20, v20, v21
	v_or3_b32 v19, v20, v25, v19
.LBB9_328:                              ;   in Loop: Header=BB9_280 Depth=1
	s_or_b32 exec_lo, exec_lo, s0
	s_delay_alu instid0(SALU_CYCLE_1)
	s_mov_b32 s0, exec_lo
	v_cmpx_gt_u32_e32 8, v24
	s_xor_b32 s4, exec_lo, s0
	s_cbranch_execz .LBB9_334
; %bb.329:                              ;   in Loop: Header=BB9_280 Depth=1
	v_mov_b32_e32 v20, 0
	v_mov_b32_e32 v21, 0
	s_mov_b32 s5, exec_lo
	v_cmpx_ne_u32_e32 0, v24
	s_cbranch_execz .LBB9_333
; %bb.330:                              ;   in Loop: Header=BB9_280 Depth=1
	v_mov_b32_e32 v20, 0
	v_mov_b32_e32 v21, 0
	s_mov_b64 s[0:1], 0
	s_mov_b32 s6, 0
	.p2align	6
.LBB9_331:                              ;   Parent Loop BB9_280 Depth=1
                                        ; =>  This Inner Loop Header: Depth=2
	flat_load_u8 v6, v[22:23]
	v_dual_mov_b32 v31, s12 :: v_dual_add_nc_u32 v24, -1, v24
	v_add_co_u32 v22, vcc_lo, v22, 1
	v_add_co_ci_u32_e32 v23, vcc_lo, 0, v23, vcc_lo
	s_delay_alu instid0(VALU_DEP_3) | instskip(SKIP_2) | instid1(VALU_DEP_1)
	v_cmp_eq_u32_e32 vcc_lo, 0, v24
	s_waitcnt vmcnt(0) lgkmcnt(0)
	v_and_b32_e32 v30, 0xffff, v6
	v_lshlrev_b64 v[30:31], s0, v[30:31]
	s_add_u32 s0, s0, 8
	s_addc_u32 s1, s1, 0
	s_or_b32 s6, vcc_lo, s6
	s_delay_alu instid0(VALU_DEP_1) | instskip(NEXT) | instid1(VALU_DEP_2)
	v_or_b32_e32 v21, v31, v21
	v_or_b32_e32 v20, v30, v20
	s_and_not1_b32 exec_lo, exec_lo, s6
	s_cbranch_execnz .LBB9_331
; %bb.332:                              ;   in Loop: Header=BB9_280 Depth=1
	s_or_b32 exec_lo, exec_lo, s6
.LBB9_333:                              ;   in Loop: Header=BB9_280 Depth=1
	s_delay_alu instid0(SALU_CYCLE_1)
	s_or_b32 exec_lo, exec_lo, s5
                                        ; implicit-def: $vgpr22_vgpr23
.LBB9_334:                              ;   in Loop: Header=BB9_280 Depth=1
	s_and_not1_saveexec_b32 s0, s4
	s_cbranch_execz .LBB9_336
; %bb.335:                              ;   in Loop: Header=BB9_280 Depth=1
	flat_load_b64 v[20:21], v[22:23]
	s_waitcnt vmcnt(0) lgkmcnt(0)
	v_and_b32_e32 v6, 0xff, v21
	v_and_b32_e32 v22, 0xff00, v21
	;; [unrolled: 1-line block ×4, first 2 shown]
	v_or3_b32 v20, v20, 0, 0
	s_delay_alu instid0(VALU_DEP_4) | instskip(NEXT) | instid1(VALU_DEP_1)
	v_or_b32_e32 v6, v6, v22
	v_or3_b32 v21, v6, v23, v21
.LBB9_336:                              ;   in Loop: Header=BB9_280 Depth=1
	s_or_b32 exec_lo, exec_lo, s0
	v_readfirstlane_b32 s0, v37
	v_mov_b32_e32 v30, 0
	v_mov_b32_e32 v31, 0
	s_delay_alu instid0(VALU_DEP_3) | instskip(NEXT) | instid1(VALU_DEP_1)
	v_cmp_eq_u32_e64 s0, s0, v37
	s_and_saveexec_b32 s1, s0
	s_cbranch_execz .LBB9_342
; %bb.337:                              ;   in Loop: Header=BB9_280 Depth=1
	global_load_b64 v[24:25], v7, s[2:3] offset:24 glc
	s_waitcnt vmcnt(0)
	buffer_gl1_inv
	buffer_gl0_inv
	s_clause 0x1
	global_load_b64 v[22:23], v7, s[2:3] offset:40
	global_load_b64 v[30:31], v7, s[2:3]
	s_mov_b32 s4, exec_lo
	s_waitcnt vmcnt(1)
	v_and_b32_e32 v6, v23, v25
	v_and_b32_e32 v22, v22, v24
	s_delay_alu instid0(VALU_DEP_2) | instskip(NEXT) | instid1(VALU_DEP_2)
	v_mul_lo_u32 v6, v6, 24
	v_mul_hi_u32 v23, v22, 24
	v_mul_lo_u32 v22, v22, 24
	s_delay_alu instid0(VALU_DEP_2) | instskip(SKIP_1) | instid1(VALU_DEP_2)
	v_add_nc_u32_e32 v6, v23, v6
	s_waitcnt vmcnt(0)
	v_add_co_u32 v22, vcc_lo, v30, v22
	s_delay_alu instid0(VALU_DEP_2)
	v_add_co_ci_u32_e32 v23, vcc_lo, v31, v6, vcc_lo
	global_load_b64 v[22:23], v[22:23], off glc
	s_waitcnt vmcnt(0)
	global_atomic_cmpswap_b64 v[30:31], v7, v[22:25], s[2:3] offset:24 glc
	s_waitcnt vmcnt(0)
	buffer_gl1_inv
	buffer_gl0_inv
	v_cmpx_ne_u64_e64 v[30:31], v[24:25]
	s_cbranch_execz .LBB9_341
; %bb.338:                              ;   in Loop: Header=BB9_280 Depth=1
	s_mov_b32 s5, 0
	.p2align	6
.LBB9_339:                              ;   Parent Loop BB9_280 Depth=1
                                        ; =>  This Inner Loop Header: Depth=2
	s_sleep 1
	s_clause 0x1
	global_load_b64 v[22:23], v7, s[2:3] offset:40
	global_load_b64 v[33:34], v7, s[2:3]
	v_dual_mov_b32 v24, v30 :: v_dual_mov_b32 v25, v31
	s_waitcnt vmcnt(1)
	s_delay_alu instid0(VALU_DEP_1) | instskip(SKIP_1) | instid1(VALU_DEP_1)
	v_and_b32_e32 v6, v22, v24
	s_waitcnt vmcnt(0)
	v_mad_u64_u32 v[30:31], null, v6, 24, v[33:34]
	v_and_b32_e32 v33, v23, v25
	s_delay_alu instid0(VALU_DEP_2) | instskip(NEXT) | instid1(VALU_DEP_1)
	v_mov_b32_e32 v6, v31
	v_mad_u64_u32 v[22:23], null, v33, 24, v[6:7]
	s_delay_alu instid0(VALU_DEP_1)
	v_mov_b32_e32 v31, v22
	global_load_b64 v[22:23], v[30:31], off glc
	s_waitcnt vmcnt(0)
	global_atomic_cmpswap_b64 v[30:31], v7, v[22:25], s[2:3] offset:24 glc
	s_waitcnt vmcnt(0)
	buffer_gl1_inv
	buffer_gl0_inv
	v_cmp_eq_u64_e32 vcc_lo, v[30:31], v[24:25]
	s_or_b32 s5, vcc_lo, s5
	s_delay_alu instid0(SALU_CYCLE_1)
	s_and_not1_b32 exec_lo, exec_lo, s5
	s_cbranch_execnz .LBB9_339
; %bb.340:                              ;   in Loop: Header=BB9_280 Depth=1
	s_or_b32 exec_lo, exec_lo, s5
.LBB9_341:                              ;   in Loop: Header=BB9_280 Depth=1
	s_delay_alu instid0(SALU_CYCLE_1)
	s_or_b32 exec_lo, exec_lo, s4
.LBB9_342:                              ;   in Loop: Header=BB9_280 Depth=1
	s_delay_alu instid0(SALU_CYCLE_1)
	s_or_b32 exec_lo, exec_lo, s1
	s_clause 0x1
	global_load_b64 v[33:34], v7, s[2:3] offset:40
	global_load_b128 v[22:25], v7, s[2:3]
	v_readfirstlane_b32 s4, v30
	v_readfirstlane_b32 s5, v31
	s_mov_b32 s1, exec_lo
	s_waitcnt vmcnt(1)
	v_readfirstlane_b32 s6, v33
	v_readfirstlane_b32 s7, v34
	s_delay_alu instid0(VALU_DEP_1) | instskip(NEXT) | instid1(SALU_CYCLE_1)
	s_and_b64 s[6:7], s[4:5], s[6:7]
	s_mul_i32 s13, s7, 24
	s_mul_hi_u32 s14, s6, 24
	s_mul_i32 s15, s6, 24
	s_add_i32 s14, s14, s13
	s_waitcnt vmcnt(0)
	v_add_co_u32 v30, vcc_lo, v22, s15
	v_add_co_ci_u32_e32 v31, vcc_lo, s14, v23, vcc_lo
	s_and_saveexec_b32 s13, s0
	s_cbranch_execz .LBB9_344
; %bb.343:                              ;   in Loop: Header=BB9_280 Depth=1
	v_mov_b32_e32 v6, s1
	global_store_b128 v[30:31], v[6:9], off offset:8
.LBB9_344:                              ;   in Loop: Header=BB9_280 Depth=1
	s_or_b32 exec_lo, exec_lo, s13
	v_cmp_lt_u64_e32 vcc_lo, 56, v[26:27]
	v_or_b32_e32 v6, 0, v1
	v_or_b32_e32 v33, v0, v32
	v_lshl_add_u32 v34, v28, 2, 28
	s_lshl_b64 s[6:7], s[6:7], 12
	s_delay_alu instid0(SALU_CYCLE_1) | instskip(NEXT) | instid1(VALU_DEP_1)
	v_add_co_u32 v24, s1, v24, s6
	v_add_co_ci_u32_e64 v25, s1, s7, v25, s1
	v_dual_cndmask_b32 v1, v6, v1 :: v_dual_cndmask_b32 v0, v33, v0
	v_and_b32_e32 v6, 0x1e0, v34
	s_delay_alu instid0(VALU_DEP_4) | instskip(NEXT) | instid1(VALU_DEP_4)
	v_readfirstlane_b32 s6, v24
	v_readfirstlane_b32 s7, v25
	s_delay_alu instid0(VALU_DEP_3)
	v_and_or_b32 v0, 0xffffff1f, v0, v6
	s_clause 0x3
	global_store_b128 v36, v[0:3], s[6:7]
	global_store_b128 v36, v[10:13], s[6:7] offset:16
	global_store_b128 v36, v[14:17], s[6:7] offset:32
	;; [unrolled: 1-line block ×3, first 2 shown]
	s_and_saveexec_b32 s1, s0
	s_cbranch_execz .LBB9_352
; %bb.345:                              ;   in Loop: Header=BB9_280 Depth=1
	s_clause 0x1
	global_load_b64 v[14:15], v7, s[2:3] offset:32 glc
	global_load_b64 v[0:1], v7, s[2:3] offset:40
	v_dual_mov_b32 v12, s4 :: v_dual_mov_b32 v13, s5
	s_waitcnt vmcnt(0)
	v_readfirstlane_b32 s6, v0
	v_readfirstlane_b32 s7, v1
	s_delay_alu instid0(VALU_DEP_1) | instskip(NEXT) | instid1(SALU_CYCLE_1)
	s_and_b64 s[6:7], s[6:7], s[4:5]
	s_mul_i32 s7, s7, 24
	s_mul_hi_u32 s13, s6, 24
	s_mul_i32 s6, s6, 24
	s_add_i32 s13, s13, s7
	v_add_co_u32 v10, vcc_lo, v22, s6
	v_add_co_ci_u32_e32 v11, vcc_lo, s13, v23, vcc_lo
	s_mov_b32 s6, exec_lo
	global_store_b64 v[10:11], v[14:15], off
	s_waitcnt_vscnt null, 0x0
	global_atomic_cmpswap_b64 v[2:3], v7, v[12:15], s[2:3] offset:32 glc
	s_waitcnt vmcnt(0)
	v_cmpx_ne_u64_e64 v[2:3], v[14:15]
	s_cbranch_execz .LBB9_348
; %bb.346:                              ;   in Loop: Header=BB9_280 Depth=1
	s_mov_b32 s7, 0
.LBB9_347:                              ;   Parent Loop BB9_280 Depth=1
                                        ; =>  This Inner Loop Header: Depth=2
	v_dual_mov_b32 v0, s4 :: v_dual_mov_b32 v1, s5
	s_sleep 1
	global_store_b64 v[10:11], v[2:3], off
	s_waitcnt_vscnt null, 0x0
	global_atomic_cmpswap_b64 v[0:1], v7, v[0:3], s[2:3] offset:32 glc
	s_waitcnt vmcnt(0)
	v_cmp_eq_u64_e32 vcc_lo, v[0:1], v[2:3]
	v_dual_mov_b32 v3, v1 :: v_dual_mov_b32 v2, v0
	s_or_b32 s7, vcc_lo, s7
	s_delay_alu instid0(SALU_CYCLE_1)
	s_and_not1_b32 exec_lo, exec_lo, s7
	s_cbranch_execnz .LBB9_347
.LBB9_348:                              ;   in Loop: Header=BB9_280 Depth=1
	s_or_b32 exec_lo, exec_lo, s6
	global_load_b64 v[0:1], v7, s[2:3] offset:16
	s_mov_b32 s7, exec_lo
	s_mov_b32 s6, exec_lo
	v_mbcnt_lo_u32_b32 v2, s7, 0
	s_delay_alu instid0(VALU_DEP_1)
	v_cmpx_eq_u32_e32 0, v2
	s_cbranch_execz .LBB9_350
; %bb.349:                              ;   in Loop: Header=BB9_280 Depth=1
	s_bcnt1_i32_b32 s7, s7
	s_delay_alu instid0(SALU_CYCLE_1)
	v_mov_b32_e32 v6, s7
	s_waitcnt vmcnt(0)
	global_atomic_add_u64 v[0:1], v[6:7], off offset:8
.LBB9_350:                              ;   in Loop: Header=BB9_280 Depth=1
	s_or_b32 exec_lo, exec_lo, s6
	s_waitcnt vmcnt(0)
	global_load_b64 v[2:3], v[0:1], off offset:16
	s_waitcnt vmcnt(0)
	v_cmp_eq_u64_e32 vcc_lo, 0, v[2:3]
	s_cbranch_vccnz .LBB9_352
; %bb.351:                              ;   in Loop: Header=BB9_280 Depth=1
	global_load_b32 v6, v[0:1], off offset:24
	s_waitcnt vmcnt(0)
	v_and_b32_e32 v0, 0xffffff, v6
	s_waitcnt_vscnt null, 0x0
	global_store_b64 v[2:3], v[6:7], off
	v_readfirstlane_b32 m0, v0
	s_sendmsg sendmsg(MSG_INTERRUPT)
.LBB9_352:                              ;   in Loop: Header=BB9_280 Depth=1
	s_or_b32 exec_lo, exec_lo, s1
	v_add_co_u32 v0, vcc_lo, v24, v36
	v_add_co_ci_u32_e32 v1, vcc_lo, 0, v25, vcc_lo
	s_branch .LBB9_356
	.p2align	6
.LBB9_353:                              ;   in Loop: Header=BB9_356 Depth=2
	s_or_b32 exec_lo, exec_lo, s1
	s_delay_alu instid0(VALU_DEP_1) | instskip(NEXT) | instid1(VALU_DEP_1)
	v_readfirstlane_b32 s1, v2
	s_cmp_eq_u32 s1, 0
	s_cbranch_scc1 .LBB9_355
; %bb.354:                              ;   in Loop: Header=BB9_356 Depth=2
	s_sleep 1
	s_cbranch_execnz .LBB9_356
	s_branch .LBB9_358
	.p2align	6
.LBB9_355:                              ;   in Loop: Header=BB9_280 Depth=1
	s_branch .LBB9_358
.LBB9_356:                              ;   Parent Loop BB9_280 Depth=1
                                        ; =>  This Inner Loop Header: Depth=2
	v_mov_b32_e32 v2, 1
	s_and_saveexec_b32 s1, s0
	s_cbranch_execz .LBB9_353
; %bb.357:                              ;   in Loop: Header=BB9_356 Depth=2
	global_load_b32 v2, v[30:31], off offset:20 glc
	s_waitcnt vmcnt(0)
	buffer_gl1_inv
	buffer_gl0_inv
	v_and_b32_e32 v2, 1, v2
	s_branch .LBB9_353
.LBB9_358:                              ;   in Loop: Header=BB9_280 Depth=1
	global_load_b128 v[0:3], v[0:1], off
	s_and_saveexec_b32 s1, s0
	s_cbranch_execz .LBB9_279
; %bb.359:                              ;   in Loop: Header=BB9_280 Depth=1
	s_clause 0x2
	global_load_b64 v[2:3], v7, s[2:3] offset:40
	global_load_b64 v[14:15], v7, s[2:3] offset:24 glc
	global_load_b64 v[12:13], v7, s[2:3]
	s_waitcnt vmcnt(2)
	v_add_co_u32 v6, vcc_lo, v2, 1
	v_add_co_ci_u32_e32 v16, vcc_lo, 0, v3, vcc_lo
	s_delay_alu instid0(VALU_DEP_2) | instskip(NEXT) | instid1(VALU_DEP_2)
	v_add_co_u32 v10, vcc_lo, v6, s4
	v_add_co_ci_u32_e32 v11, vcc_lo, s5, v16, vcc_lo
	s_delay_alu instid0(VALU_DEP_1) | instskip(SKIP_1) | instid1(VALU_DEP_1)
	v_cmp_eq_u64_e32 vcc_lo, 0, v[10:11]
	v_dual_cndmask_b32 v11, v11, v16 :: v_dual_cndmask_b32 v10, v10, v6
	v_and_b32_e32 v3, v11, v3
	s_delay_alu instid0(VALU_DEP_2) | instskip(NEXT) | instid1(VALU_DEP_1)
	v_and_b32_e32 v2, v10, v2
	v_mul_hi_u32 v6, v2, 24
	v_mul_lo_u32 v2, v2, 24
	s_waitcnt vmcnt(0)
	s_delay_alu instid0(VALU_DEP_1) | instskip(SKIP_2) | instid1(VALU_DEP_1)
	v_add_co_u32 v2, vcc_lo, v12, v2
	v_mov_b32_e32 v12, v14
	v_mul_lo_u32 v3, v3, 24
	v_add_nc_u32_e32 v3, v6, v3
	s_delay_alu instid0(VALU_DEP_1)
	v_add_co_ci_u32_e32 v3, vcc_lo, v13, v3, vcc_lo
	v_mov_b32_e32 v13, v15
	global_store_b64 v[2:3], v[14:15], off
	s_waitcnt_vscnt null, 0x0
	global_atomic_cmpswap_b64 v[12:13], v7, v[10:13], s[2:3] offset:24 glc
	s_waitcnt vmcnt(0)
	v_cmp_ne_u64_e32 vcc_lo, v[12:13], v[14:15]
	s_and_b32 exec_lo, exec_lo, vcc_lo
	s_cbranch_execz .LBB9_279
; %bb.360:                              ;   in Loop: Header=BB9_280 Depth=1
	s_mov_b32 s0, 0
.LBB9_361:                              ;   Parent Loop BB9_280 Depth=1
                                        ; =>  This Inner Loop Header: Depth=2
	s_sleep 1
	global_store_b64 v[2:3], v[12:13], off
	s_waitcnt_vscnt null, 0x0
	global_atomic_cmpswap_b64 v[14:15], v7, v[10:13], s[2:3] offset:24 glc
	s_waitcnt vmcnt(0)
	v_cmp_eq_u64_e32 vcc_lo, v[14:15], v[12:13]
	v_dual_mov_b32 v12, v14 :: v_dual_mov_b32 v13, v15
	s_or_b32 s0, vcc_lo, s0
	s_delay_alu instid0(SALU_CYCLE_1)
	s_and_not1_b32 exec_lo, exec_lo, s0
	s_cbranch_execnz .LBB9_361
	s_branch .LBB9_279
.LBB9_362:
	s_or_b32 exec_lo, exec_lo, s11
                                        ; implicit-def: $vgpr36
                                        ; implicit-def: $vgpr37
.LBB9_363:
	s_and_not1_saveexec_b32 s1, s10
	s_cbranch_execz .LBB9_391
; %bb.364:
	v_readfirstlane_b32 s0, v37
	v_mov_b32_e32 v8, 0
	v_mov_b32_e32 v9, 0
	s_delay_alu instid0(VALU_DEP_3) | instskip(NEXT) | instid1(VALU_DEP_1)
	v_cmp_eq_u32_e64 s0, s0, v37
	s_and_saveexec_b32 s4, s0
	s_cbranch_execz .LBB9_370
; %bb.365:
	s_waitcnt vmcnt(0)
	v_mov_b32_e32 v2, 0
	s_mov_b32 s5, exec_lo
	global_load_b64 v[5:6], v2, s[2:3] offset:24 glc
	s_waitcnt vmcnt(0)
	buffer_gl1_inv
	buffer_gl0_inv
	s_clause 0x1
	global_load_b64 v[3:4], v2, s[2:3] offset:40
	global_load_b64 v[7:8], v2, s[2:3]
	s_waitcnt vmcnt(1)
	v_and_b32_e32 v3, v3, v5
	v_and_b32_e32 v4, v4, v6
	s_delay_alu instid0(VALU_DEP_2) | instskip(NEXT) | instid1(VALU_DEP_2)
	v_mul_hi_u32 v9, v3, 24
	v_mul_lo_u32 v4, v4, 24
	v_mul_lo_u32 v3, v3, 24
	s_delay_alu instid0(VALU_DEP_2) | instskip(SKIP_1) | instid1(VALU_DEP_2)
	v_add_nc_u32_e32 v4, v9, v4
	s_waitcnt vmcnt(0)
	v_add_co_u32 v3, vcc_lo, v7, v3
	s_delay_alu instid0(VALU_DEP_2)
	v_add_co_ci_u32_e32 v4, vcc_lo, v8, v4, vcc_lo
	global_load_b64 v[3:4], v[3:4], off glc
	s_waitcnt vmcnt(0)
	global_atomic_cmpswap_b64 v[8:9], v2, v[3:6], s[2:3] offset:24 glc
	s_waitcnt vmcnt(0)
	buffer_gl1_inv
	buffer_gl0_inv
	v_cmpx_ne_u64_e64 v[8:9], v[5:6]
	s_cbranch_execz .LBB9_369
; %bb.366:
	s_mov_b32 s6, 0
	.p2align	6
.LBB9_367:                              ; =>This Inner Loop Header: Depth=1
	s_sleep 1
	s_clause 0x1
	global_load_b64 v[3:4], v2, s[2:3] offset:40
	global_load_b64 v[10:11], v2, s[2:3]
	v_dual_mov_b32 v5, v8 :: v_dual_mov_b32 v6, v9
	s_waitcnt vmcnt(1)
	s_delay_alu instid0(VALU_DEP_1) | instskip(NEXT) | instid1(VALU_DEP_2)
	v_and_b32_e32 v3, v3, v5
	v_and_b32_e32 v4, v4, v6
	s_waitcnt vmcnt(0)
	s_delay_alu instid0(VALU_DEP_2) | instskip(NEXT) | instid1(VALU_DEP_1)
	v_mad_u64_u32 v[7:8], null, v3, 24, v[10:11]
	v_mov_b32_e32 v3, v8
	s_delay_alu instid0(VALU_DEP_1)
	v_mad_u64_u32 v[8:9], null, v4, 24, v[3:4]
	global_load_b64 v[3:4], v[7:8], off glc
	s_waitcnt vmcnt(0)
	global_atomic_cmpswap_b64 v[8:9], v2, v[3:6], s[2:3] offset:24 glc
	s_waitcnt vmcnt(0)
	buffer_gl1_inv
	buffer_gl0_inv
	v_cmp_eq_u64_e32 vcc_lo, v[8:9], v[5:6]
	s_or_b32 s6, vcc_lo, s6
	s_delay_alu instid0(SALU_CYCLE_1)
	s_and_not1_b32 exec_lo, exec_lo, s6
	s_cbranch_execnz .LBB9_367
; %bb.368:
	s_or_b32 exec_lo, exec_lo, s6
.LBB9_369:
	s_delay_alu instid0(SALU_CYCLE_1)
	s_or_b32 exec_lo, exec_lo, s5
.LBB9_370:
	s_delay_alu instid0(SALU_CYCLE_1)
	s_or_b32 exec_lo, exec_lo, s4
	s_waitcnt vmcnt(0)
	v_mov_b32_e32 v2, 0
	v_readfirstlane_b32 s4, v8
	v_readfirstlane_b32 s5, v9
	s_mov_b32 s10, exec_lo
	s_clause 0x1
	global_load_b64 v[10:11], v2, s[2:3] offset:40
	global_load_b128 v[4:7], v2, s[2:3]
	s_waitcnt vmcnt(1)
	v_readfirstlane_b32 s6, v10
	v_readfirstlane_b32 s7, v11
	s_delay_alu instid0(VALU_DEP_1) | instskip(NEXT) | instid1(SALU_CYCLE_1)
	s_and_b64 s[6:7], s[4:5], s[6:7]
	s_mul_i32 s11, s7, 24
	s_mul_hi_u32 s12, s6, 24
	s_mul_i32 s13, s6, 24
	s_add_i32 s12, s12, s11
	s_waitcnt vmcnt(0)
	v_add_co_u32 v8, vcc_lo, v4, s13
	v_add_co_ci_u32_e32 v9, vcc_lo, s12, v5, vcc_lo
	s_and_saveexec_b32 s11, s0
	s_cbranch_execz .LBB9_372
; %bb.371:
	v_dual_mov_b32 v10, s10 :: v_dual_mov_b32 v11, v2
	v_dual_mov_b32 v12, 2 :: v_dual_mov_b32 v13, 1
	global_store_b128 v[8:9], v[10:13], off offset:8
.LBB9_372:
	s_or_b32 exec_lo, exec_lo, s11
	s_lshl_b64 s[6:7], s[6:7], 12
	s_mov_b32 s12, 0
	v_add_co_u32 v6, vcc_lo, v6, s6
	v_add_co_ci_u32_e32 v7, vcc_lo, s7, v7, vcc_lo
	s_mov_b32 s13, s12
	s_delay_alu instid0(VALU_DEP_2)
	v_readfirstlane_b32 s6, v6
	v_add_co_u32 v6, vcc_lo, v6, v36
	s_mov_b32 s14, s12
	s_mov_b32 s15, s12
	v_and_or_b32 v0, 0xffffff1f, v0, 32
	v_dual_mov_b32 v3, v2 :: v_dual_mov_b32 v10, s12
	v_readfirstlane_b32 s7, v7
	v_add_co_ci_u32_e32 v7, vcc_lo, 0, v7, vcc_lo
	v_dual_mov_b32 v11, s13 :: v_dual_mov_b32 v12, s14
	v_mov_b32_e32 v13, s15
	s_clause 0x3
	global_store_b128 v36, v[0:3], s[6:7]
	global_store_b128 v36, v[10:13], s[6:7] offset:16
	global_store_b128 v36, v[10:13], s[6:7] offset:32
	;; [unrolled: 1-line block ×3, first 2 shown]
	s_and_saveexec_b32 s6, s0
	s_cbranch_execz .LBB9_380
; %bb.373:
	v_dual_mov_b32 v10, 0 :: v_dual_mov_b32 v11, s4
	v_mov_b32_e32 v12, s5
	s_clause 0x1
	global_load_b64 v[13:14], v10, s[2:3] offset:32 glc
	global_load_b64 v[0:1], v10, s[2:3] offset:40
	s_waitcnt vmcnt(0)
	v_readfirstlane_b32 s10, v0
	v_readfirstlane_b32 s11, v1
	s_delay_alu instid0(VALU_DEP_1) | instskip(NEXT) | instid1(SALU_CYCLE_1)
	s_and_b64 s[10:11], s[10:11], s[4:5]
	s_mul_i32 s7, s11, 24
	s_mul_hi_u32 s11, s10, 24
	s_mul_i32 s10, s10, 24
	s_add_i32 s11, s11, s7
	v_add_co_u32 v4, vcc_lo, v4, s10
	v_add_co_ci_u32_e32 v5, vcc_lo, s11, v5, vcc_lo
	s_mov_b32 s7, exec_lo
	global_store_b64 v[4:5], v[13:14], off
	s_waitcnt_vscnt null, 0x0
	global_atomic_cmpswap_b64 v[2:3], v10, v[11:14], s[2:3] offset:32 glc
	s_waitcnt vmcnt(0)
	v_cmpx_ne_u64_e64 v[2:3], v[13:14]
	s_cbranch_execz .LBB9_376
; %bb.374:
	s_mov_b32 s10, 0
.LBB9_375:                              ; =>This Inner Loop Header: Depth=1
	v_dual_mov_b32 v0, s4 :: v_dual_mov_b32 v1, s5
	s_sleep 1
	global_store_b64 v[4:5], v[2:3], off
	s_waitcnt_vscnt null, 0x0
	global_atomic_cmpswap_b64 v[0:1], v10, v[0:3], s[2:3] offset:32 glc
	s_waitcnt vmcnt(0)
	v_cmp_eq_u64_e32 vcc_lo, v[0:1], v[2:3]
	v_dual_mov_b32 v3, v1 :: v_dual_mov_b32 v2, v0
	s_or_b32 s10, vcc_lo, s10
	s_delay_alu instid0(SALU_CYCLE_1)
	s_and_not1_b32 exec_lo, exec_lo, s10
	s_cbranch_execnz .LBB9_375
.LBB9_376:
	s_or_b32 exec_lo, exec_lo, s7
	v_mov_b32_e32 v3, 0
	s_mov_b32 s10, exec_lo
	s_mov_b32 s7, exec_lo
	v_mbcnt_lo_u32_b32 v2, s10, 0
	global_load_b64 v[0:1], v3, s[2:3] offset:16
	v_cmpx_eq_u32_e32 0, v2
	s_cbranch_execz .LBB9_378
; %bb.377:
	s_bcnt1_i32_b32 s10, s10
	s_delay_alu instid0(SALU_CYCLE_1)
	v_mov_b32_e32 v2, s10
	s_waitcnt vmcnt(0)
	global_atomic_add_u64 v[0:1], v[2:3], off offset:8
.LBB9_378:
	s_or_b32 exec_lo, exec_lo, s7
	s_waitcnt vmcnt(0)
	global_load_b64 v[2:3], v[0:1], off offset:16
	s_waitcnt vmcnt(0)
	v_cmp_eq_u64_e32 vcc_lo, 0, v[2:3]
	s_cbranch_vccnz .LBB9_380
; %bb.379:
	global_load_b32 v0, v[0:1], off offset:24
	s_waitcnt vmcnt(0)
	v_dual_mov_b32 v1, 0 :: v_dual_and_b32 v4, 0xffffff, v0
	s_waitcnt_vscnt null, 0x0
	global_store_b64 v[2:3], v[0:1], off
	v_readfirstlane_b32 m0, v4
	s_sendmsg sendmsg(MSG_INTERRUPT)
.LBB9_380:
	s_or_b32 exec_lo, exec_lo, s6
	s_branch .LBB9_384
	.p2align	6
.LBB9_381:                              ;   in Loop: Header=BB9_384 Depth=1
	s_or_b32 exec_lo, exec_lo, s6
	s_delay_alu instid0(VALU_DEP_1) | instskip(NEXT) | instid1(VALU_DEP_1)
	v_readfirstlane_b32 s6, v0
	s_cmp_eq_u32 s6, 0
	s_cbranch_scc1 .LBB9_383
; %bb.382:                              ;   in Loop: Header=BB9_384 Depth=1
	s_sleep 1
	s_cbranch_execnz .LBB9_384
	s_branch .LBB9_386
	.p2align	6
.LBB9_383:
	s_branch .LBB9_386
.LBB9_384:                              ; =>This Inner Loop Header: Depth=1
	v_mov_b32_e32 v0, 1
	s_and_saveexec_b32 s6, s0
	s_cbranch_execz .LBB9_381
; %bb.385:                              ;   in Loop: Header=BB9_384 Depth=1
	global_load_b32 v0, v[8:9], off offset:20 glc
	s_waitcnt vmcnt(0)
	buffer_gl1_inv
	buffer_gl0_inv
	v_and_b32_e32 v0, 1, v0
	s_branch .LBB9_381
.LBB9_386:
	global_load_b64 v[0:1], v[6:7], off
	s_and_saveexec_b32 s6, s0
	s_cbranch_execz .LBB9_390
; %bb.387:
	v_mov_b32_e32 v8, 0
	s_clause 0x2
	global_load_b64 v[4:5], v8, s[2:3] offset:40
	global_load_b64 v[9:10], v8, s[2:3] offset:24 glc
	global_load_b64 v[6:7], v8, s[2:3]
	s_waitcnt vmcnt(2)
	v_add_co_u32 v11, vcc_lo, v4, 1
	v_add_co_ci_u32_e32 v12, vcc_lo, 0, v5, vcc_lo
	s_delay_alu instid0(VALU_DEP_2) | instskip(NEXT) | instid1(VALU_DEP_2)
	v_add_co_u32 v2, vcc_lo, v11, s4
	v_add_co_ci_u32_e32 v3, vcc_lo, s5, v12, vcc_lo
	s_delay_alu instid0(VALU_DEP_1) | instskip(SKIP_1) | instid1(VALU_DEP_1)
	v_cmp_eq_u64_e32 vcc_lo, 0, v[2:3]
	v_dual_cndmask_b32 v3, v3, v12 :: v_dual_cndmask_b32 v2, v2, v11
	v_and_b32_e32 v5, v3, v5
	s_delay_alu instid0(VALU_DEP_2) | instskip(NEXT) | instid1(VALU_DEP_2)
	v_and_b32_e32 v4, v2, v4
	v_mul_lo_u32 v5, v5, 24
	s_delay_alu instid0(VALU_DEP_2) | instskip(SKIP_1) | instid1(VALU_DEP_2)
	v_mul_hi_u32 v11, v4, 24
	v_mul_lo_u32 v4, v4, 24
	v_add_nc_u32_e32 v5, v11, v5
	s_waitcnt vmcnt(0)
	s_delay_alu instid0(VALU_DEP_2) | instskip(SKIP_1) | instid1(VALU_DEP_3)
	v_add_co_u32 v6, vcc_lo, v6, v4
	v_mov_b32_e32 v4, v9
	v_add_co_ci_u32_e32 v7, vcc_lo, v7, v5, vcc_lo
	v_mov_b32_e32 v5, v10
	global_store_b64 v[6:7], v[9:10], off
	s_waitcnt_vscnt null, 0x0
	global_atomic_cmpswap_b64 v[4:5], v8, v[2:5], s[2:3] offset:24 glc
	s_waitcnt vmcnt(0)
	v_cmp_ne_u64_e32 vcc_lo, v[4:5], v[9:10]
	s_and_b32 exec_lo, exec_lo, vcc_lo
	s_cbranch_execz .LBB9_390
; %bb.388:
	s_mov_b32 s0, 0
.LBB9_389:                              ; =>This Inner Loop Header: Depth=1
	s_sleep 1
	global_store_b64 v[6:7], v[4:5], off
	s_waitcnt_vscnt null, 0x0
	global_atomic_cmpswap_b64 v[9:10], v8, v[2:5], s[2:3] offset:24 glc
	s_waitcnt vmcnt(0)
	v_cmp_eq_u64_e32 vcc_lo, v[9:10], v[4:5]
	v_dual_mov_b32 v4, v9 :: v_dual_mov_b32 v5, v10
	s_or_b32 s0, vcc_lo, s0
	s_delay_alu instid0(SALU_CYCLE_1)
	s_and_not1_b32 exec_lo, exec_lo, s0
	s_cbranch_execnz .LBB9_389
.LBB9_390:
	s_or_b32 exec_lo, exec_lo, s6
.LBB9_391:
	s_delay_alu instid0(SALU_CYCLE_1)
	s_or_b32 exec_lo, exec_lo, s1
	s_getpc_b64 s[0:1]
	s_add_u32 s0, s0, .str.1@rel32@lo+4
	s_addc_u32 s1, s1, .str.1@rel32@hi+12
	s_getpc_b64 s[2:3]
	s_add_u32 s2, s2, .str.1@rel32@lo+10
	s_addc_u32 s3, s3, .str.1@rel32@hi+18
	s_sub_i32 s4, s2, s0
	s_getpc_b64 s[2:3]
	s_add_u32 s2, s2, __ockl_fprintf_append_string_n@rel32@lo+4
	s_addc_u32 s3, s3, __ockl_fprintf_append_string_n@rel32@hi+12
	s_ashr_i32 s5, s4, 31
	s_waitcnt vmcnt(0)
	v_dual_mov_b32 v2, s0 :: v_dual_mov_b32 v3, s1
	v_dual_mov_b32 v4, s4 :: v_dual_mov_b32 v5, s5
	v_mov_b32_e32 v6, 1
	s_swappc_b64 s[30:31], s[2:3]
	s_trap 2
	s_sendmsg_rtn_b32 s0, sendmsg(MSG_RTN_GET_DOORBELL)
	s_mov_b32 ttmp2, m0
	s_waitcnt lgkmcnt(0)
	s_and_b32 s0, s0, 0x3ff
	s_delay_alu instid0(SALU_CYCLE_1) | instskip(NEXT) | instid1(SALU_CYCLE_1)
	s_bitset1_b32 s0, 10
	s_mov_b32 m0, s0
	s_sendmsg sendmsg(MSG_INTERRUPT)
	s_mov_b32 m0, ttmp2
.LBB9_392:                              ; =>This Inner Loop Header: Depth=1
	s_sethalt 5
	s_branch .LBB9_392
.Lfunc_end9:
	.size	__assert_fail, .Lfunc_end9-__assert_fail
                                        ; -- End function
	.section	.AMDGPU.csdata,"",@progbits
; Function info:
; codeLenInByte = 16112
; NumSgprs: 36
; NumVgprs: 50
; ScratchSize: 64
; MemoryBound: 0
	.section	.text._Z16wvSplitK_hf_sml_I6__halfLi64ELi2ELi16ELi8ELi2ELi1EEviiPKT_S3_PS1_ii,"axG",@progbits,_Z16wvSplitK_hf_sml_I6__halfLi64ELi2ELi16ELi8ELi2ELi1EEviiPKT_S3_PS1_ii,comdat
	.protected	_Z16wvSplitK_hf_sml_I6__halfLi64ELi2ELi16ELi8ELi2ELi1EEviiPKT_S3_PS1_ii ; -- Begin function _Z16wvSplitK_hf_sml_I6__halfLi64ELi2ELi16ELi8ELi2ELi1EEviiPKT_S3_PS1_ii
	.globl	_Z16wvSplitK_hf_sml_I6__halfLi64ELi2ELi16ELi8ELi2ELi1EEviiPKT_S3_PS1_ii
	.p2align	8
	.type	_Z16wvSplitK_hf_sml_I6__halfLi64ELi2ELi16ELi8ELi2ELi1EEviiPKT_S3_PS1_ii,@function
_Z16wvSplitK_hf_sml_I6__halfLi64ELi2ELi16ELi8ELi2ELi1EEviiPKT_S3_PS1_ii: ; @_Z16wvSplitK_hf_sml_I6__halfLi64ELi2ELi16ELi8ELi2ELi1EEviiPKT_S3_PS1_ii
; %bb.0:
	s_add_u32 s8, s0, 40
	s_addc_u32 s9, s1, 0
	s_getpc_b64 s[0:1]
	s_add_u32 s0, s0, __PRETTY_FUNCTION__._Z16wvSplitK_hf_sml_I6__halfLi64ELi2ELi16ELi8ELi2ELi1EEviiPKT_S3_PS1_ii@rel32@lo+4
	s_addc_u32 s1, s1, __PRETTY_FUNCTION__._Z16wvSplitK_hf_sml_I6__halfLi64ELi2ELi16ELi8ELi2ELi1EEviiPKT_S3_PS1_ii@rel32@hi+12
	v_dual_mov_b32 v0, 0x224 :: v_dual_mov_b32 v1, s0
	v_mov_b32_e32 v2, s1
	s_mov_b32 s32, 0
	s_getpc_b64 s[2:3]
	s_add_u32 s2, s2, __assert_fail@rel32@lo+4
	s_addc_u32 s3, s3, __assert_fail@rel32@hi+12
	s_delay_alu instid0(SALU_CYCLE_1)
	s_swappc_b64 s[30:31], s[2:3]
	.section	.rodata,"a",@progbits
	.p2align	6, 0x0
	.amdhsa_kernel _Z16wvSplitK_hf_sml_I6__halfLi64ELi2ELi16ELi8ELi2ELi1EEviiPKT_S3_PS1_ii
		.amdhsa_group_segment_fixed_size 0
		.amdhsa_private_segment_fixed_size 64
		.amdhsa_kernarg_size 296
		.amdhsa_user_sgpr_count 15
		.amdhsa_user_sgpr_dispatch_ptr 0
		.amdhsa_user_sgpr_queue_ptr 0
		.amdhsa_user_sgpr_kernarg_segment_ptr 1
		.amdhsa_user_sgpr_dispatch_id 0
		.amdhsa_user_sgpr_private_segment_size 0
		.amdhsa_wavefront_size32 1
		.amdhsa_uses_dynamic_stack 0
		.amdhsa_enable_private_segment 1
		.amdhsa_system_sgpr_workgroup_id_x 1
		.amdhsa_system_sgpr_workgroup_id_y 0
		.amdhsa_system_sgpr_workgroup_id_z 0
		.amdhsa_system_sgpr_workgroup_info 0
		.amdhsa_system_vgpr_workitem_id 0
		.amdhsa_next_free_vgpr 50
		.amdhsa_next_free_sgpr 34
		.amdhsa_reserve_vcc 1
		.amdhsa_float_round_mode_32 0
		.amdhsa_float_round_mode_16_64 0
		.amdhsa_float_denorm_mode_32 3
		.amdhsa_float_denorm_mode_16_64 3
		.amdhsa_dx10_clamp 1
		.amdhsa_ieee_mode 1
		.amdhsa_fp16_overflow 0
		.amdhsa_workgroup_processor_mode 1
		.amdhsa_memory_ordered 1
		.amdhsa_forward_progress 0
		.amdhsa_shared_vgpr_count 0
		.amdhsa_exception_fp_ieee_invalid_op 0
		.amdhsa_exception_fp_denorm_src 0
		.amdhsa_exception_fp_ieee_div_zero 0
		.amdhsa_exception_fp_ieee_overflow 0
		.amdhsa_exception_fp_ieee_underflow 0
		.amdhsa_exception_fp_ieee_inexact 0
		.amdhsa_exception_int_div_zero 0
	.end_amdhsa_kernel
	.section	.text._Z16wvSplitK_hf_sml_I6__halfLi64ELi2ELi16ELi8ELi2ELi1EEviiPKT_S3_PS1_ii,"axG",@progbits,_Z16wvSplitK_hf_sml_I6__halfLi64ELi2ELi16ELi8ELi2ELi1EEviiPKT_S3_PS1_ii,comdat
.Lfunc_end10:
	.size	_Z16wvSplitK_hf_sml_I6__halfLi64ELi2ELi16ELi8ELi2ELi1EEviiPKT_S3_PS1_ii, .Lfunc_end10-_Z16wvSplitK_hf_sml_I6__halfLi64ELi2ELi16ELi8ELi2ELi1EEviiPKT_S3_PS1_ii
                                        ; -- End function
	.section	.AMDGPU.csdata,"",@progbits
; Kernel info:
; codeLenInByte = 76
; NumSgprs: 36
; NumVgprs: 50
; ScratchSize: 64
; MemoryBound: 0
; FloatMode: 240
; IeeeMode: 1
; LDSByteSize: 0 bytes/workgroup (compile time only)
; SGPRBlocks: 4
; VGPRBlocks: 6
; NumSGPRsForWavesPerEU: 36
; NumVGPRsForWavesPerEU: 50
; Occupancy: 16
; WaveLimiterHint : 1
; COMPUTE_PGM_RSRC2:SCRATCH_EN: 1
; COMPUTE_PGM_RSRC2:USER_SGPR: 15
; COMPUTE_PGM_RSRC2:TRAP_HANDLER: 0
; COMPUTE_PGM_RSRC2:TGID_X_EN: 1
; COMPUTE_PGM_RSRC2:TGID_Y_EN: 0
; COMPUTE_PGM_RSRC2:TGID_Z_EN: 0
; COMPUTE_PGM_RSRC2:TIDIG_COMP_CNT: 0
	.section	.text._Z12wvSplitK_hf_I6__halfLi64ELi2ELi16ELi8ELi2ELi1EEviiPKT_S3_PS1_ii,"axG",@progbits,_Z12wvSplitK_hf_I6__halfLi64ELi2ELi16ELi8ELi2ELi1EEviiPKT_S3_PS1_ii,comdat
	.protected	_Z12wvSplitK_hf_I6__halfLi64ELi2ELi16ELi8ELi2ELi1EEviiPKT_S3_PS1_ii ; -- Begin function _Z12wvSplitK_hf_I6__halfLi64ELi2ELi16ELi8ELi2ELi1EEviiPKT_S3_PS1_ii
	.globl	_Z12wvSplitK_hf_I6__halfLi64ELi2ELi16ELi8ELi2ELi1EEviiPKT_S3_PS1_ii
	.p2align	8
	.type	_Z12wvSplitK_hf_I6__halfLi64ELi2ELi16ELi8ELi2ELi1EEviiPKT_S3_PS1_ii,@function
_Z12wvSplitK_hf_I6__halfLi64ELi2ELi16ELi8ELi2ELi1EEviiPKT_S3_PS1_ii: ; @_Z12wvSplitK_hf_I6__halfLi64ELi2ELi16ELi8ELi2ELi1EEviiPKT_S3_PS1_ii
; %bb.0:
	s_add_u32 s8, s0, 40
	s_addc_u32 s9, s1, 0
	s_getpc_b64 s[0:1]
	s_add_u32 s0, s0, __PRETTY_FUNCTION__._Z12wvSplitK_hf_I6__halfLi64ELi2ELi16ELi8ELi2ELi1EEviiPKT_S3_PS1_ii@rel32@lo+4
	s_addc_u32 s1, s1, __PRETTY_FUNCTION__._Z12wvSplitK_hf_I6__halfLi64ELi2ELi16ELi8ELi2ELi1EEviiPKT_S3_PS1_ii@rel32@hi+12
	v_dual_mov_b32 v0, 0x351 :: v_dual_mov_b32 v1, s0
	v_mov_b32_e32 v2, s1
	s_mov_b32 s32, 0
	s_getpc_b64 s[2:3]
	s_add_u32 s2, s2, __assert_fail@rel32@lo+4
	s_addc_u32 s3, s3, __assert_fail@rel32@hi+12
	s_delay_alu instid0(SALU_CYCLE_1)
	s_swappc_b64 s[30:31], s[2:3]
	.section	.rodata,"a",@progbits
	.p2align	6, 0x0
	.amdhsa_kernel _Z12wvSplitK_hf_I6__halfLi64ELi2ELi16ELi8ELi2ELi1EEviiPKT_S3_PS1_ii
		.amdhsa_group_segment_fixed_size 0
		.amdhsa_private_segment_fixed_size 64
		.amdhsa_kernarg_size 296
		.amdhsa_user_sgpr_count 15
		.amdhsa_user_sgpr_dispatch_ptr 0
		.amdhsa_user_sgpr_queue_ptr 0
		.amdhsa_user_sgpr_kernarg_segment_ptr 1
		.amdhsa_user_sgpr_dispatch_id 0
		.amdhsa_user_sgpr_private_segment_size 0
		.amdhsa_wavefront_size32 1
		.amdhsa_uses_dynamic_stack 0
		.amdhsa_enable_private_segment 1
		.amdhsa_system_sgpr_workgroup_id_x 1
		.amdhsa_system_sgpr_workgroup_id_y 0
		.amdhsa_system_sgpr_workgroup_id_z 0
		.amdhsa_system_sgpr_workgroup_info 0
		.amdhsa_system_vgpr_workitem_id 0
		.amdhsa_next_free_vgpr 50
		.amdhsa_next_free_sgpr 34
		.amdhsa_reserve_vcc 1
		.amdhsa_float_round_mode_32 0
		.amdhsa_float_round_mode_16_64 0
		.amdhsa_float_denorm_mode_32 3
		.amdhsa_float_denorm_mode_16_64 3
		.amdhsa_dx10_clamp 1
		.amdhsa_ieee_mode 1
		.amdhsa_fp16_overflow 0
		.amdhsa_workgroup_processor_mode 1
		.amdhsa_memory_ordered 1
		.amdhsa_forward_progress 0
		.amdhsa_shared_vgpr_count 0
		.amdhsa_exception_fp_ieee_invalid_op 0
		.amdhsa_exception_fp_denorm_src 0
		.amdhsa_exception_fp_ieee_div_zero 0
		.amdhsa_exception_fp_ieee_overflow 0
		.amdhsa_exception_fp_ieee_underflow 0
		.amdhsa_exception_fp_ieee_inexact 0
		.amdhsa_exception_int_div_zero 0
	.end_amdhsa_kernel
	.section	.text._Z12wvSplitK_hf_I6__halfLi64ELi2ELi16ELi8ELi2ELi1EEviiPKT_S3_PS1_ii,"axG",@progbits,_Z12wvSplitK_hf_I6__halfLi64ELi2ELi16ELi8ELi2ELi1EEviiPKT_S3_PS1_ii,comdat
.Lfunc_end11:
	.size	_Z12wvSplitK_hf_I6__halfLi64ELi2ELi16ELi8ELi2ELi1EEviiPKT_S3_PS1_ii, .Lfunc_end11-_Z12wvSplitK_hf_I6__halfLi64ELi2ELi16ELi8ELi2ELi1EEviiPKT_S3_PS1_ii
                                        ; -- End function
	.section	.AMDGPU.csdata,"",@progbits
; Kernel info:
; codeLenInByte = 76
; NumSgprs: 36
; NumVgprs: 50
; ScratchSize: 64
; MemoryBound: 0
; FloatMode: 240
; IeeeMode: 1
; LDSByteSize: 0 bytes/workgroup (compile time only)
; SGPRBlocks: 4
; VGPRBlocks: 6
; NumSGPRsForWavesPerEU: 36
; NumVGPRsForWavesPerEU: 50
; Occupancy: 16
; WaveLimiterHint : 1
; COMPUTE_PGM_RSRC2:SCRATCH_EN: 1
; COMPUTE_PGM_RSRC2:USER_SGPR: 15
; COMPUTE_PGM_RSRC2:TRAP_HANDLER: 0
; COMPUTE_PGM_RSRC2:TGID_X_EN: 1
; COMPUTE_PGM_RSRC2:TGID_Y_EN: 0
; COMPUTE_PGM_RSRC2:TGID_Z_EN: 0
; COMPUTE_PGM_RSRC2:TIDIG_COMP_CNT: 0
	.section	.text._Z16wvSplitK_hf_big_I6__halfLi64ELi2ELi16ELi8ELi2ELi1EEviiPKT_S3_PS1_ii,"axG",@progbits,_Z16wvSplitK_hf_big_I6__halfLi64ELi2ELi16ELi8ELi2ELi1EEviiPKT_S3_PS1_ii,comdat
	.protected	_Z16wvSplitK_hf_big_I6__halfLi64ELi2ELi16ELi8ELi2ELi1EEviiPKT_S3_PS1_ii ; -- Begin function _Z16wvSplitK_hf_big_I6__halfLi64ELi2ELi16ELi8ELi2ELi1EEviiPKT_S3_PS1_ii
	.globl	_Z16wvSplitK_hf_big_I6__halfLi64ELi2ELi16ELi8ELi2ELi1EEviiPKT_S3_PS1_ii
	.p2align	8
	.type	_Z16wvSplitK_hf_big_I6__halfLi64ELi2ELi16ELi8ELi2ELi1EEviiPKT_S3_PS1_ii,@function
_Z16wvSplitK_hf_big_I6__halfLi64ELi2ELi16ELi8ELi2ELi1EEviiPKT_S3_PS1_ii: ; @_Z16wvSplitK_hf_big_I6__halfLi64ELi2ELi16ELi8ELi2ELi1EEviiPKT_S3_PS1_ii
; %bb.0:
	s_add_u32 s8, s0, 40
	s_addc_u32 s9, s1, 0
	s_getpc_b64 s[0:1]
	s_add_u32 s0, s0, __PRETTY_FUNCTION__._Z16wvSplitK_hf_big_I6__halfLi64ELi2ELi16ELi8ELi2ELi1EEviiPKT_S3_PS1_ii@rel32@lo+4
	s_addc_u32 s1, s1, __PRETTY_FUNCTION__._Z16wvSplitK_hf_big_I6__halfLi64ELi2ELi16ELi8ELi2ELi1EEviiPKT_S3_PS1_ii@rel32@hi+12
	v_dual_mov_b32 v0, 0x4ad :: v_dual_mov_b32 v1, s0
	v_mov_b32_e32 v2, s1
	s_mov_b32 s32, 0
	s_getpc_b64 s[2:3]
	s_add_u32 s2, s2, __assert_fail@rel32@lo+4
	s_addc_u32 s3, s3, __assert_fail@rel32@hi+12
	s_delay_alu instid0(SALU_CYCLE_1)
	s_swappc_b64 s[30:31], s[2:3]
	.section	.rodata,"a",@progbits
	.p2align	6, 0x0
	.amdhsa_kernel _Z16wvSplitK_hf_big_I6__halfLi64ELi2ELi16ELi8ELi2ELi1EEviiPKT_S3_PS1_ii
		.amdhsa_group_segment_fixed_size 0
		.amdhsa_private_segment_fixed_size 64
		.amdhsa_kernarg_size 296
		.amdhsa_user_sgpr_count 15
		.amdhsa_user_sgpr_dispatch_ptr 0
		.amdhsa_user_sgpr_queue_ptr 0
		.amdhsa_user_sgpr_kernarg_segment_ptr 1
		.amdhsa_user_sgpr_dispatch_id 0
		.amdhsa_user_sgpr_private_segment_size 0
		.amdhsa_wavefront_size32 1
		.amdhsa_uses_dynamic_stack 0
		.amdhsa_enable_private_segment 1
		.amdhsa_system_sgpr_workgroup_id_x 1
		.amdhsa_system_sgpr_workgroup_id_y 0
		.amdhsa_system_sgpr_workgroup_id_z 0
		.amdhsa_system_sgpr_workgroup_info 0
		.amdhsa_system_vgpr_workitem_id 0
		.amdhsa_next_free_vgpr 50
		.amdhsa_next_free_sgpr 34
		.amdhsa_reserve_vcc 1
		.amdhsa_float_round_mode_32 0
		.amdhsa_float_round_mode_16_64 0
		.amdhsa_float_denorm_mode_32 3
		.amdhsa_float_denorm_mode_16_64 3
		.amdhsa_dx10_clamp 1
		.amdhsa_ieee_mode 1
		.amdhsa_fp16_overflow 0
		.amdhsa_workgroup_processor_mode 1
		.amdhsa_memory_ordered 1
		.amdhsa_forward_progress 0
		.amdhsa_shared_vgpr_count 0
		.amdhsa_exception_fp_ieee_invalid_op 0
		.amdhsa_exception_fp_denorm_src 0
		.amdhsa_exception_fp_ieee_div_zero 0
		.amdhsa_exception_fp_ieee_overflow 0
		.amdhsa_exception_fp_ieee_underflow 0
		.amdhsa_exception_fp_ieee_inexact 0
		.amdhsa_exception_int_div_zero 0
	.end_amdhsa_kernel
	.section	.text._Z16wvSplitK_hf_big_I6__halfLi64ELi2ELi16ELi8ELi2ELi1EEviiPKT_S3_PS1_ii,"axG",@progbits,_Z16wvSplitK_hf_big_I6__halfLi64ELi2ELi16ELi8ELi2ELi1EEviiPKT_S3_PS1_ii,comdat
.Lfunc_end12:
	.size	_Z16wvSplitK_hf_big_I6__halfLi64ELi2ELi16ELi8ELi2ELi1EEviiPKT_S3_PS1_ii, .Lfunc_end12-_Z16wvSplitK_hf_big_I6__halfLi64ELi2ELi16ELi8ELi2ELi1EEviiPKT_S3_PS1_ii
                                        ; -- End function
	.section	.AMDGPU.csdata,"",@progbits
; Kernel info:
; codeLenInByte = 76
; NumSgprs: 36
; NumVgprs: 50
; ScratchSize: 64
; MemoryBound: 0
; FloatMode: 240
; IeeeMode: 1
; LDSByteSize: 0 bytes/workgroup (compile time only)
; SGPRBlocks: 4
; VGPRBlocks: 6
; NumSGPRsForWavesPerEU: 36
; NumVGPRsForWavesPerEU: 50
; Occupancy: 16
; WaveLimiterHint : 1
; COMPUTE_PGM_RSRC2:SCRATCH_EN: 1
; COMPUTE_PGM_RSRC2:USER_SGPR: 15
; COMPUTE_PGM_RSRC2:TRAP_HANDLER: 0
; COMPUTE_PGM_RSRC2:TGID_X_EN: 1
; COMPUTE_PGM_RSRC2:TGID_Y_EN: 0
; COMPUTE_PGM_RSRC2:TGID_Z_EN: 0
; COMPUTE_PGM_RSRC2:TIDIG_COMP_CNT: 0
	.section	.text._Z16wvSplitK_hf_sml_I6__halfLi64ELi2ELi16ELi8ELi2ELi2EEviiPKT_S3_PS1_ii,"axG",@progbits,_Z16wvSplitK_hf_sml_I6__halfLi64ELi2ELi16ELi8ELi2ELi2EEviiPKT_S3_PS1_ii,comdat
	.protected	_Z16wvSplitK_hf_sml_I6__halfLi64ELi2ELi16ELi8ELi2ELi2EEviiPKT_S3_PS1_ii ; -- Begin function _Z16wvSplitK_hf_sml_I6__halfLi64ELi2ELi16ELi8ELi2ELi2EEviiPKT_S3_PS1_ii
	.globl	_Z16wvSplitK_hf_sml_I6__halfLi64ELi2ELi16ELi8ELi2ELi2EEviiPKT_S3_PS1_ii
	.p2align	8
	.type	_Z16wvSplitK_hf_sml_I6__halfLi64ELi2ELi16ELi8ELi2ELi2EEviiPKT_S3_PS1_ii,@function
_Z16wvSplitK_hf_sml_I6__halfLi64ELi2ELi16ELi8ELi2ELi2EEviiPKT_S3_PS1_ii: ; @_Z16wvSplitK_hf_sml_I6__halfLi64ELi2ELi16ELi8ELi2ELi2EEviiPKT_S3_PS1_ii
; %bb.0:
	s_add_u32 s8, s0, 40
	s_addc_u32 s9, s1, 0
	s_getpc_b64 s[0:1]
	s_add_u32 s0, s0, __PRETTY_FUNCTION__._Z16wvSplitK_hf_sml_I6__halfLi64ELi2ELi16ELi8ELi2ELi2EEviiPKT_S3_PS1_ii@rel32@lo+4
	s_addc_u32 s1, s1, __PRETTY_FUNCTION__._Z16wvSplitK_hf_sml_I6__halfLi64ELi2ELi16ELi8ELi2ELi2EEviiPKT_S3_PS1_ii@rel32@hi+12
	v_dual_mov_b32 v0, 0x224 :: v_dual_mov_b32 v1, s0
	v_mov_b32_e32 v2, s1
	s_mov_b32 s32, 0
	s_getpc_b64 s[2:3]
	s_add_u32 s2, s2, __assert_fail@rel32@lo+4
	s_addc_u32 s3, s3, __assert_fail@rel32@hi+12
	s_delay_alu instid0(SALU_CYCLE_1)
	s_swappc_b64 s[30:31], s[2:3]
	.section	.rodata,"a",@progbits
	.p2align	6, 0x0
	.amdhsa_kernel _Z16wvSplitK_hf_sml_I6__halfLi64ELi2ELi16ELi8ELi2ELi2EEviiPKT_S3_PS1_ii
		.amdhsa_group_segment_fixed_size 0
		.amdhsa_private_segment_fixed_size 64
		.amdhsa_kernarg_size 296
		.amdhsa_user_sgpr_count 15
		.amdhsa_user_sgpr_dispatch_ptr 0
		.amdhsa_user_sgpr_queue_ptr 0
		.amdhsa_user_sgpr_kernarg_segment_ptr 1
		.amdhsa_user_sgpr_dispatch_id 0
		.amdhsa_user_sgpr_private_segment_size 0
		.amdhsa_wavefront_size32 1
		.amdhsa_uses_dynamic_stack 0
		.amdhsa_enable_private_segment 1
		.amdhsa_system_sgpr_workgroup_id_x 1
		.amdhsa_system_sgpr_workgroup_id_y 0
		.amdhsa_system_sgpr_workgroup_id_z 0
		.amdhsa_system_sgpr_workgroup_info 0
		.amdhsa_system_vgpr_workitem_id 0
		.amdhsa_next_free_vgpr 50
		.amdhsa_next_free_sgpr 34
		.amdhsa_reserve_vcc 1
		.amdhsa_float_round_mode_32 0
		.amdhsa_float_round_mode_16_64 0
		.amdhsa_float_denorm_mode_32 3
		.amdhsa_float_denorm_mode_16_64 3
		.amdhsa_dx10_clamp 1
		.amdhsa_ieee_mode 1
		.amdhsa_fp16_overflow 0
		.amdhsa_workgroup_processor_mode 1
		.amdhsa_memory_ordered 1
		.amdhsa_forward_progress 0
		.amdhsa_shared_vgpr_count 0
		.amdhsa_exception_fp_ieee_invalid_op 0
		.amdhsa_exception_fp_denorm_src 0
		.amdhsa_exception_fp_ieee_div_zero 0
		.amdhsa_exception_fp_ieee_overflow 0
		.amdhsa_exception_fp_ieee_underflow 0
		.amdhsa_exception_fp_ieee_inexact 0
		.amdhsa_exception_int_div_zero 0
	.end_amdhsa_kernel
	.section	.text._Z16wvSplitK_hf_sml_I6__halfLi64ELi2ELi16ELi8ELi2ELi2EEviiPKT_S3_PS1_ii,"axG",@progbits,_Z16wvSplitK_hf_sml_I6__halfLi64ELi2ELi16ELi8ELi2ELi2EEviiPKT_S3_PS1_ii,comdat
.Lfunc_end13:
	.size	_Z16wvSplitK_hf_sml_I6__halfLi64ELi2ELi16ELi8ELi2ELi2EEviiPKT_S3_PS1_ii, .Lfunc_end13-_Z16wvSplitK_hf_sml_I6__halfLi64ELi2ELi16ELi8ELi2ELi2EEviiPKT_S3_PS1_ii
                                        ; -- End function
	.section	.AMDGPU.csdata,"",@progbits
; Kernel info:
; codeLenInByte = 76
; NumSgprs: 36
; NumVgprs: 50
; ScratchSize: 64
; MemoryBound: 0
; FloatMode: 240
; IeeeMode: 1
; LDSByteSize: 0 bytes/workgroup (compile time only)
; SGPRBlocks: 4
; VGPRBlocks: 6
; NumSGPRsForWavesPerEU: 36
; NumVGPRsForWavesPerEU: 50
; Occupancy: 16
; WaveLimiterHint : 1
; COMPUTE_PGM_RSRC2:SCRATCH_EN: 1
; COMPUTE_PGM_RSRC2:USER_SGPR: 15
; COMPUTE_PGM_RSRC2:TRAP_HANDLER: 0
; COMPUTE_PGM_RSRC2:TGID_X_EN: 1
; COMPUTE_PGM_RSRC2:TGID_Y_EN: 0
; COMPUTE_PGM_RSRC2:TGID_Z_EN: 0
; COMPUTE_PGM_RSRC2:TIDIG_COMP_CNT: 0
	.section	.text._Z12wvSplitK_hf_I6__halfLi64ELi2ELi16ELi8ELi2ELi2EEviiPKT_S3_PS1_ii,"axG",@progbits,_Z12wvSplitK_hf_I6__halfLi64ELi2ELi16ELi8ELi2ELi2EEviiPKT_S3_PS1_ii,comdat
	.protected	_Z12wvSplitK_hf_I6__halfLi64ELi2ELi16ELi8ELi2ELi2EEviiPKT_S3_PS1_ii ; -- Begin function _Z12wvSplitK_hf_I6__halfLi64ELi2ELi16ELi8ELi2ELi2EEviiPKT_S3_PS1_ii
	.globl	_Z12wvSplitK_hf_I6__halfLi64ELi2ELi16ELi8ELi2ELi2EEviiPKT_S3_PS1_ii
	.p2align	8
	.type	_Z12wvSplitK_hf_I6__halfLi64ELi2ELi16ELi8ELi2ELi2EEviiPKT_S3_PS1_ii,@function
_Z12wvSplitK_hf_I6__halfLi64ELi2ELi16ELi8ELi2ELi2EEviiPKT_S3_PS1_ii: ; @_Z12wvSplitK_hf_I6__halfLi64ELi2ELi16ELi8ELi2ELi2EEviiPKT_S3_PS1_ii
; %bb.0:
	s_add_u32 s8, s0, 40
	s_addc_u32 s9, s1, 0
	s_getpc_b64 s[0:1]
	s_add_u32 s0, s0, __PRETTY_FUNCTION__._Z12wvSplitK_hf_I6__halfLi64ELi2ELi16ELi8ELi2ELi2EEviiPKT_S3_PS1_ii@rel32@lo+4
	s_addc_u32 s1, s1, __PRETTY_FUNCTION__._Z12wvSplitK_hf_I6__halfLi64ELi2ELi16ELi8ELi2ELi2EEviiPKT_S3_PS1_ii@rel32@hi+12
	v_dual_mov_b32 v0, 0x351 :: v_dual_mov_b32 v1, s0
	v_mov_b32_e32 v2, s1
	s_mov_b32 s32, 0
	s_getpc_b64 s[2:3]
	s_add_u32 s2, s2, __assert_fail@rel32@lo+4
	s_addc_u32 s3, s3, __assert_fail@rel32@hi+12
	s_delay_alu instid0(SALU_CYCLE_1)
	s_swappc_b64 s[30:31], s[2:3]
	.section	.rodata,"a",@progbits
	.p2align	6, 0x0
	.amdhsa_kernel _Z12wvSplitK_hf_I6__halfLi64ELi2ELi16ELi8ELi2ELi2EEviiPKT_S3_PS1_ii
		.amdhsa_group_segment_fixed_size 0
		.amdhsa_private_segment_fixed_size 64
		.amdhsa_kernarg_size 296
		.amdhsa_user_sgpr_count 15
		.amdhsa_user_sgpr_dispatch_ptr 0
		.amdhsa_user_sgpr_queue_ptr 0
		.amdhsa_user_sgpr_kernarg_segment_ptr 1
		.amdhsa_user_sgpr_dispatch_id 0
		.amdhsa_user_sgpr_private_segment_size 0
		.amdhsa_wavefront_size32 1
		.amdhsa_uses_dynamic_stack 0
		.amdhsa_enable_private_segment 1
		.amdhsa_system_sgpr_workgroup_id_x 1
		.amdhsa_system_sgpr_workgroup_id_y 0
		.amdhsa_system_sgpr_workgroup_id_z 0
		.amdhsa_system_sgpr_workgroup_info 0
		.amdhsa_system_vgpr_workitem_id 0
		.amdhsa_next_free_vgpr 50
		.amdhsa_next_free_sgpr 34
		.amdhsa_reserve_vcc 1
		.amdhsa_float_round_mode_32 0
		.amdhsa_float_round_mode_16_64 0
		.amdhsa_float_denorm_mode_32 3
		.amdhsa_float_denorm_mode_16_64 3
		.amdhsa_dx10_clamp 1
		.amdhsa_ieee_mode 1
		.amdhsa_fp16_overflow 0
		.amdhsa_workgroup_processor_mode 1
		.amdhsa_memory_ordered 1
		.amdhsa_forward_progress 0
		.amdhsa_shared_vgpr_count 0
		.amdhsa_exception_fp_ieee_invalid_op 0
		.amdhsa_exception_fp_denorm_src 0
		.amdhsa_exception_fp_ieee_div_zero 0
		.amdhsa_exception_fp_ieee_overflow 0
		.amdhsa_exception_fp_ieee_underflow 0
		.amdhsa_exception_fp_ieee_inexact 0
		.amdhsa_exception_int_div_zero 0
	.end_amdhsa_kernel
	.section	.text._Z12wvSplitK_hf_I6__halfLi64ELi2ELi16ELi8ELi2ELi2EEviiPKT_S3_PS1_ii,"axG",@progbits,_Z12wvSplitK_hf_I6__halfLi64ELi2ELi16ELi8ELi2ELi2EEviiPKT_S3_PS1_ii,comdat
.Lfunc_end14:
	.size	_Z12wvSplitK_hf_I6__halfLi64ELi2ELi16ELi8ELi2ELi2EEviiPKT_S3_PS1_ii, .Lfunc_end14-_Z12wvSplitK_hf_I6__halfLi64ELi2ELi16ELi8ELi2ELi2EEviiPKT_S3_PS1_ii
                                        ; -- End function
	.section	.AMDGPU.csdata,"",@progbits
; Kernel info:
; codeLenInByte = 76
; NumSgprs: 36
; NumVgprs: 50
; ScratchSize: 64
; MemoryBound: 0
; FloatMode: 240
; IeeeMode: 1
; LDSByteSize: 0 bytes/workgroup (compile time only)
; SGPRBlocks: 4
; VGPRBlocks: 6
; NumSGPRsForWavesPerEU: 36
; NumVGPRsForWavesPerEU: 50
; Occupancy: 16
; WaveLimiterHint : 1
; COMPUTE_PGM_RSRC2:SCRATCH_EN: 1
; COMPUTE_PGM_RSRC2:USER_SGPR: 15
; COMPUTE_PGM_RSRC2:TRAP_HANDLER: 0
; COMPUTE_PGM_RSRC2:TGID_X_EN: 1
; COMPUTE_PGM_RSRC2:TGID_Y_EN: 0
; COMPUTE_PGM_RSRC2:TGID_Z_EN: 0
; COMPUTE_PGM_RSRC2:TIDIG_COMP_CNT: 0
	.section	.text._Z16wvSplitK_hf_big_I6__halfLi64ELi2ELi16ELi8ELi2ELi2EEviiPKT_S3_PS1_ii,"axG",@progbits,_Z16wvSplitK_hf_big_I6__halfLi64ELi2ELi16ELi8ELi2ELi2EEviiPKT_S3_PS1_ii,comdat
	.protected	_Z16wvSplitK_hf_big_I6__halfLi64ELi2ELi16ELi8ELi2ELi2EEviiPKT_S3_PS1_ii ; -- Begin function _Z16wvSplitK_hf_big_I6__halfLi64ELi2ELi16ELi8ELi2ELi2EEviiPKT_S3_PS1_ii
	.globl	_Z16wvSplitK_hf_big_I6__halfLi64ELi2ELi16ELi8ELi2ELi2EEviiPKT_S3_PS1_ii
	.p2align	8
	.type	_Z16wvSplitK_hf_big_I6__halfLi64ELi2ELi16ELi8ELi2ELi2EEviiPKT_S3_PS1_ii,@function
_Z16wvSplitK_hf_big_I6__halfLi64ELi2ELi16ELi8ELi2ELi2EEviiPKT_S3_PS1_ii: ; @_Z16wvSplitK_hf_big_I6__halfLi64ELi2ELi16ELi8ELi2ELi2EEviiPKT_S3_PS1_ii
; %bb.0:
	s_add_u32 s8, s0, 40
	s_addc_u32 s9, s1, 0
	s_getpc_b64 s[0:1]
	s_add_u32 s0, s0, __PRETTY_FUNCTION__._Z16wvSplitK_hf_big_I6__halfLi64ELi2ELi16ELi8ELi2ELi2EEviiPKT_S3_PS1_ii@rel32@lo+4
	s_addc_u32 s1, s1, __PRETTY_FUNCTION__._Z16wvSplitK_hf_big_I6__halfLi64ELi2ELi16ELi8ELi2ELi2EEviiPKT_S3_PS1_ii@rel32@hi+12
	v_dual_mov_b32 v0, 0x4ad :: v_dual_mov_b32 v1, s0
	v_mov_b32_e32 v2, s1
	s_mov_b32 s32, 0
	s_getpc_b64 s[2:3]
	s_add_u32 s2, s2, __assert_fail@rel32@lo+4
	s_addc_u32 s3, s3, __assert_fail@rel32@hi+12
	s_delay_alu instid0(SALU_CYCLE_1)
	s_swappc_b64 s[30:31], s[2:3]
	.section	.rodata,"a",@progbits
	.p2align	6, 0x0
	.amdhsa_kernel _Z16wvSplitK_hf_big_I6__halfLi64ELi2ELi16ELi8ELi2ELi2EEviiPKT_S3_PS1_ii
		.amdhsa_group_segment_fixed_size 0
		.amdhsa_private_segment_fixed_size 64
		.amdhsa_kernarg_size 296
		.amdhsa_user_sgpr_count 15
		.amdhsa_user_sgpr_dispatch_ptr 0
		.amdhsa_user_sgpr_queue_ptr 0
		.amdhsa_user_sgpr_kernarg_segment_ptr 1
		.amdhsa_user_sgpr_dispatch_id 0
		.amdhsa_user_sgpr_private_segment_size 0
		.amdhsa_wavefront_size32 1
		.amdhsa_uses_dynamic_stack 0
		.amdhsa_enable_private_segment 1
		.amdhsa_system_sgpr_workgroup_id_x 1
		.amdhsa_system_sgpr_workgroup_id_y 0
		.amdhsa_system_sgpr_workgroup_id_z 0
		.amdhsa_system_sgpr_workgroup_info 0
		.amdhsa_system_vgpr_workitem_id 0
		.amdhsa_next_free_vgpr 50
		.amdhsa_next_free_sgpr 34
		.amdhsa_reserve_vcc 1
		.amdhsa_float_round_mode_32 0
		.amdhsa_float_round_mode_16_64 0
		.amdhsa_float_denorm_mode_32 3
		.amdhsa_float_denorm_mode_16_64 3
		.amdhsa_dx10_clamp 1
		.amdhsa_ieee_mode 1
		.amdhsa_fp16_overflow 0
		.amdhsa_workgroup_processor_mode 1
		.amdhsa_memory_ordered 1
		.amdhsa_forward_progress 0
		.amdhsa_shared_vgpr_count 0
		.amdhsa_exception_fp_ieee_invalid_op 0
		.amdhsa_exception_fp_denorm_src 0
		.amdhsa_exception_fp_ieee_div_zero 0
		.amdhsa_exception_fp_ieee_overflow 0
		.amdhsa_exception_fp_ieee_underflow 0
		.amdhsa_exception_fp_ieee_inexact 0
		.amdhsa_exception_int_div_zero 0
	.end_amdhsa_kernel
	.section	.text._Z16wvSplitK_hf_big_I6__halfLi64ELi2ELi16ELi8ELi2ELi2EEviiPKT_S3_PS1_ii,"axG",@progbits,_Z16wvSplitK_hf_big_I6__halfLi64ELi2ELi16ELi8ELi2ELi2EEviiPKT_S3_PS1_ii,comdat
.Lfunc_end15:
	.size	_Z16wvSplitK_hf_big_I6__halfLi64ELi2ELi16ELi8ELi2ELi2EEviiPKT_S3_PS1_ii, .Lfunc_end15-_Z16wvSplitK_hf_big_I6__halfLi64ELi2ELi16ELi8ELi2ELi2EEviiPKT_S3_PS1_ii
                                        ; -- End function
	.section	.AMDGPU.csdata,"",@progbits
; Kernel info:
; codeLenInByte = 76
; NumSgprs: 36
; NumVgprs: 50
; ScratchSize: 64
; MemoryBound: 0
; FloatMode: 240
; IeeeMode: 1
; LDSByteSize: 0 bytes/workgroup (compile time only)
; SGPRBlocks: 4
; VGPRBlocks: 6
; NumSGPRsForWavesPerEU: 36
; NumVGPRsForWavesPerEU: 50
; Occupancy: 16
; WaveLimiterHint : 1
; COMPUTE_PGM_RSRC2:SCRATCH_EN: 1
; COMPUTE_PGM_RSRC2:USER_SGPR: 15
; COMPUTE_PGM_RSRC2:TRAP_HANDLER: 0
; COMPUTE_PGM_RSRC2:TGID_X_EN: 1
; COMPUTE_PGM_RSRC2:TGID_Y_EN: 0
; COMPUTE_PGM_RSRC2:TGID_Z_EN: 0
; COMPUTE_PGM_RSRC2:TIDIG_COMP_CNT: 0
	.section	.text._Z16wvSplitK_hf_sml_I6__halfLi64ELi4ELi16ELi8ELi1ELi3EEviiPKT_S3_PS1_ii,"axG",@progbits,_Z16wvSplitK_hf_sml_I6__halfLi64ELi4ELi16ELi8ELi1ELi3EEviiPKT_S3_PS1_ii,comdat
	.protected	_Z16wvSplitK_hf_sml_I6__halfLi64ELi4ELi16ELi8ELi1ELi3EEviiPKT_S3_PS1_ii ; -- Begin function _Z16wvSplitK_hf_sml_I6__halfLi64ELi4ELi16ELi8ELi1ELi3EEviiPKT_S3_PS1_ii
	.globl	_Z16wvSplitK_hf_sml_I6__halfLi64ELi4ELi16ELi8ELi1ELi3EEviiPKT_S3_PS1_ii
	.p2align	8
	.type	_Z16wvSplitK_hf_sml_I6__halfLi64ELi4ELi16ELi8ELi1ELi3EEviiPKT_S3_PS1_ii,@function
_Z16wvSplitK_hf_sml_I6__halfLi64ELi4ELi16ELi8ELi1ELi3EEviiPKT_S3_PS1_ii: ; @_Z16wvSplitK_hf_sml_I6__halfLi64ELi4ELi16ELi8ELi1ELi3EEviiPKT_S3_PS1_ii
; %bb.0:
	s_add_u32 s8, s0, 40
	s_addc_u32 s9, s1, 0
	s_getpc_b64 s[0:1]
	s_add_u32 s0, s0, __PRETTY_FUNCTION__._Z16wvSplitK_hf_sml_I6__halfLi64ELi4ELi16ELi8ELi1ELi3EEviiPKT_S3_PS1_ii@rel32@lo+4
	s_addc_u32 s1, s1, __PRETTY_FUNCTION__._Z16wvSplitK_hf_sml_I6__halfLi64ELi4ELi16ELi8ELi1ELi3EEviiPKT_S3_PS1_ii@rel32@hi+12
	v_dual_mov_b32 v0, 0x224 :: v_dual_mov_b32 v1, s0
	v_mov_b32_e32 v2, s1
	s_mov_b32 s32, 0
	s_getpc_b64 s[2:3]
	s_add_u32 s2, s2, __assert_fail@rel32@lo+4
	s_addc_u32 s3, s3, __assert_fail@rel32@hi+12
	s_delay_alu instid0(SALU_CYCLE_1)
	s_swappc_b64 s[30:31], s[2:3]
	.section	.rodata,"a",@progbits
	.p2align	6, 0x0
	.amdhsa_kernel _Z16wvSplitK_hf_sml_I6__halfLi64ELi4ELi16ELi8ELi1ELi3EEviiPKT_S3_PS1_ii
		.amdhsa_group_segment_fixed_size 0
		.amdhsa_private_segment_fixed_size 64
		.amdhsa_kernarg_size 296
		.amdhsa_user_sgpr_count 15
		.amdhsa_user_sgpr_dispatch_ptr 0
		.amdhsa_user_sgpr_queue_ptr 0
		.amdhsa_user_sgpr_kernarg_segment_ptr 1
		.amdhsa_user_sgpr_dispatch_id 0
		.amdhsa_user_sgpr_private_segment_size 0
		.amdhsa_wavefront_size32 1
		.amdhsa_uses_dynamic_stack 0
		.amdhsa_enable_private_segment 1
		.amdhsa_system_sgpr_workgroup_id_x 1
		.amdhsa_system_sgpr_workgroup_id_y 0
		.amdhsa_system_sgpr_workgroup_id_z 0
		.amdhsa_system_sgpr_workgroup_info 0
		.amdhsa_system_vgpr_workitem_id 0
		.amdhsa_next_free_vgpr 50
		.amdhsa_next_free_sgpr 34
		.amdhsa_reserve_vcc 1
		.amdhsa_float_round_mode_32 0
		.amdhsa_float_round_mode_16_64 0
		.amdhsa_float_denorm_mode_32 3
		.amdhsa_float_denorm_mode_16_64 3
		.amdhsa_dx10_clamp 1
		.amdhsa_ieee_mode 1
		.amdhsa_fp16_overflow 0
		.amdhsa_workgroup_processor_mode 1
		.amdhsa_memory_ordered 1
		.amdhsa_forward_progress 0
		.amdhsa_shared_vgpr_count 0
		.amdhsa_exception_fp_ieee_invalid_op 0
		.amdhsa_exception_fp_denorm_src 0
		.amdhsa_exception_fp_ieee_div_zero 0
		.amdhsa_exception_fp_ieee_overflow 0
		.amdhsa_exception_fp_ieee_underflow 0
		.amdhsa_exception_fp_ieee_inexact 0
		.amdhsa_exception_int_div_zero 0
	.end_amdhsa_kernel
	.section	.text._Z16wvSplitK_hf_sml_I6__halfLi64ELi4ELi16ELi8ELi1ELi3EEviiPKT_S3_PS1_ii,"axG",@progbits,_Z16wvSplitK_hf_sml_I6__halfLi64ELi4ELi16ELi8ELi1ELi3EEviiPKT_S3_PS1_ii,comdat
.Lfunc_end16:
	.size	_Z16wvSplitK_hf_sml_I6__halfLi64ELi4ELi16ELi8ELi1ELi3EEviiPKT_S3_PS1_ii, .Lfunc_end16-_Z16wvSplitK_hf_sml_I6__halfLi64ELi4ELi16ELi8ELi1ELi3EEviiPKT_S3_PS1_ii
                                        ; -- End function
	.section	.AMDGPU.csdata,"",@progbits
; Kernel info:
; codeLenInByte = 76
; NumSgprs: 36
; NumVgprs: 50
; ScratchSize: 64
; MemoryBound: 0
; FloatMode: 240
; IeeeMode: 1
; LDSByteSize: 0 bytes/workgroup (compile time only)
; SGPRBlocks: 4
; VGPRBlocks: 6
; NumSGPRsForWavesPerEU: 36
; NumVGPRsForWavesPerEU: 50
; Occupancy: 16
; WaveLimiterHint : 1
; COMPUTE_PGM_RSRC2:SCRATCH_EN: 1
; COMPUTE_PGM_RSRC2:USER_SGPR: 15
; COMPUTE_PGM_RSRC2:TRAP_HANDLER: 0
; COMPUTE_PGM_RSRC2:TGID_X_EN: 1
; COMPUTE_PGM_RSRC2:TGID_Y_EN: 0
; COMPUTE_PGM_RSRC2:TGID_Z_EN: 0
; COMPUTE_PGM_RSRC2:TIDIG_COMP_CNT: 0
	.section	.text._Z12wvSplitK_hf_I6__halfLi64ELi7ELi16ELi8ELi1ELi3EEviiPKT_S3_PS1_ii,"axG",@progbits,_Z12wvSplitK_hf_I6__halfLi64ELi7ELi16ELi8ELi1ELi3EEviiPKT_S3_PS1_ii,comdat
	.protected	_Z12wvSplitK_hf_I6__halfLi64ELi7ELi16ELi8ELi1ELi3EEviiPKT_S3_PS1_ii ; -- Begin function _Z12wvSplitK_hf_I6__halfLi64ELi7ELi16ELi8ELi1ELi3EEviiPKT_S3_PS1_ii
	.globl	_Z12wvSplitK_hf_I6__halfLi64ELi7ELi16ELi8ELi1ELi3EEviiPKT_S3_PS1_ii
	.p2align	8
	.type	_Z12wvSplitK_hf_I6__halfLi64ELi7ELi16ELi8ELi1ELi3EEviiPKT_S3_PS1_ii,@function
_Z12wvSplitK_hf_I6__halfLi64ELi7ELi16ELi8ELi1ELi3EEviiPKT_S3_PS1_ii: ; @_Z12wvSplitK_hf_I6__halfLi64ELi7ELi16ELi8ELi1ELi3EEviiPKT_S3_PS1_ii
; %bb.0:
	s_add_u32 s8, s0, 40
	s_addc_u32 s9, s1, 0
	s_getpc_b64 s[0:1]
	s_add_u32 s0, s0, __PRETTY_FUNCTION__._Z12wvSplitK_hf_I6__halfLi64ELi7ELi16ELi8ELi1ELi3EEviiPKT_S3_PS1_ii@rel32@lo+4
	s_addc_u32 s1, s1, __PRETTY_FUNCTION__._Z12wvSplitK_hf_I6__halfLi64ELi7ELi16ELi8ELi1ELi3EEviiPKT_S3_PS1_ii@rel32@hi+12
	v_dual_mov_b32 v0, 0x351 :: v_dual_mov_b32 v1, s0
	v_mov_b32_e32 v2, s1
	s_mov_b32 s32, 0
	s_getpc_b64 s[2:3]
	s_add_u32 s2, s2, __assert_fail@rel32@lo+4
	s_addc_u32 s3, s3, __assert_fail@rel32@hi+12
	s_delay_alu instid0(SALU_CYCLE_1)
	s_swappc_b64 s[30:31], s[2:3]
	.section	.rodata,"a",@progbits
	.p2align	6, 0x0
	.amdhsa_kernel _Z12wvSplitK_hf_I6__halfLi64ELi7ELi16ELi8ELi1ELi3EEviiPKT_S3_PS1_ii
		.amdhsa_group_segment_fixed_size 0
		.amdhsa_private_segment_fixed_size 64
		.amdhsa_kernarg_size 296
		.amdhsa_user_sgpr_count 15
		.amdhsa_user_sgpr_dispatch_ptr 0
		.amdhsa_user_sgpr_queue_ptr 0
		.amdhsa_user_sgpr_kernarg_segment_ptr 1
		.amdhsa_user_sgpr_dispatch_id 0
		.amdhsa_user_sgpr_private_segment_size 0
		.amdhsa_wavefront_size32 1
		.amdhsa_uses_dynamic_stack 0
		.amdhsa_enable_private_segment 1
		.amdhsa_system_sgpr_workgroup_id_x 1
		.amdhsa_system_sgpr_workgroup_id_y 0
		.amdhsa_system_sgpr_workgroup_id_z 0
		.amdhsa_system_sgpr_workgroup_info 0
		.amdhsa_system_vgpr_workitem_id 0
		.amdhsa_next_free_vgpr 50
		.amdhsa_next_free_sgpr 34
		.amdhsa_reserve_vcc 1
		.amdhsa_float_round_mode_32 0
		.amdhsa_float_round_mode_16_64 0
		.amdhsa_float_denorm_mode_32 3
		.amdhsa_float_denorm_mode_16_64 3
		.amdhsa_dx10_clamp 1
		.amdhsa_ieee_mode 1
		.amdhsa_fp16_overflow 0
		.amdhsa_workgroup_processor_mode 1
		.amdhsa_memory_ordered 1
		.amdhsa_forward_progress 0
		.amdhsa_shared_vgpr_count 0
		.amdhsa_exception_fp_ieee_invalid_op 0
		.amdhsa_exception_fp_denorm_src 0
		.amdhsa_exception_fp_ieee_div_zero 0
		.amdhsa_exception_fp_ieee_overflow 0
		.amdhsa_exception_fp_ieee_underflow 0
		.amdhsa_exception_fp_ieee_inexact 0
		.amdhsa_exception_int_div_zero 0
	.end_amdhsa_kernel
	.section	.text._Z12wvSplitK_hf_I6__halfLi64ELi7ELi16ELi8ELi1ELi3EEviiPKT_S3_PS1_ii,"axG",@progbits,_Z12wvSplitK_hf_I6__halfLi64ELi7ELi16ELi8ELi1ELi3EEviiPKT_S3_PS1_ii,comdat
.Lfunc_end17:
	.size	_Z12wvSplitK_hf_I6__halfLi64ELi7ELi16ELi8ELi1ELi3EEviiPKT_S3_PS1_ii, .Lfunc_end17-_Z12wvSplitK_hf_I6__halfLi64ELi7ELi16ELi8ELi1ELi3EEviiPKT_S3_PS1_ii
                                        ; -- End function
	.section	.AMDGPU.csdata,"",@progbits
; Kernel info:
; codeLenInByte = 76
; NumSgprs: 36
; NumVgprs: 50
; ScratchSize: 64
; MemoryBound: 0
; FloatMode: 240
; IeeeMode: 1
; LDSByteSize: 0 bytes/workgroup (compile time only)
; SGPRBlocks: 4
; VGPRBlocks: 6
; NumSGPRsForWavesPerEU: 36
; NumVGPRsForWavesPerEU: 50
; Occupancy: 16
; WaveLimiterHint : 1
; COMPUTE_PGM_RSRC2:SCRATCH_EN: 1
; COMPUTE_PGM_RSRC2:USER_SGPR: 15
; COMPUTE_PGM_RSRC2:TRAP_HANDLER: 0
; COMPUTE_PGM_RSRC2:TGID_X_EN: 1
; COMPUTE_PGM_RSRC2:TGID_Y_EN: 0
; COMPUTE_PGM_RSRC2:TGID_Z_EN: 0
; COMPUTE_PGM_RSRC2:TIDIG_COMP_CNT: 0
	.section	.text._Z16wvSplitK_hf_big_I6__halfLi64ELi7ELi16ELi8ELi1ELi3EEviiPKT_S3_PS1_ii,"axG",@progbits,_Z16wvSplitK_hf_big_I6__halfLi64ELi7ELi16ELi8ELi1ELi3EEviiPKT_S3_PS1_ii,comdat
	.protected	_Z16wvSplitK_hf_big_I6__halfLi64ELi7ELi16ELi8ELi1ELi3EEviiPKT_S3_PS1_ii ; -- Begin function _Z16wvSplitK_hf_big_I6__halfLi64ELi7ELi16ELi8ELi1ELi3EEviiPKT_S3_PS1_ii
	.globl	_Z16wvSplitK_hf_big_I6__halfLi64ELi7ELi16ELi8ELi1ELi3EEviiPKT_S3_PS1_ii
	.p2align	8
	.type	_Z16wvSplitK_hf_big_I6__halfLi64ELi7ELi16ELi8ELi1ELi3EEviiPKT_S3_PS1_ii,@function
_Z16wvSplitK_hf_big_I6__halfLi64ELi7ELi16ELi8ELi1ELi3EEviiPKT_S3_PS1_ii: ; @_Z16wvSplitK_hf_big_I6__halfLi64ELi7ELi16ELi8ELi1ELi3EEviiPKT_S3_PS1_ii
; %bb.0:
	s_add_u32 s8, s0, 40
	s_addc_u32 s9, s1, 0
	s_getpc_b64 s[0:1]
	s_add_u32 s0, s0, __PRETTY_FUNCTION__._Z16wvSplitK_hf_big_I6__halfLi64ELi7ELi16ELi8ELi1ELi3EEviiPKT_S3_PS1_ii@rel32@lo+4
	s_addc_u32 s1, s1, __PRETTY_FUNCTION__._Z16wvSplitK_hf_big_I6__halfLi64ELi7ELi16ELi8ELi1ELi3EEviiPKT_S3_PS1_ii@rel32@hi+12
	v_dual_mov_b32 v0, 0x4ad :: v_dual_mov_b32 v1, s0
	v_mov_b32_e32 v2, s1
	s_mov_b32 s32, 0
	s_getpc_b64 s[2:3]
	s_add_u32 s2, s2, __assert_fail@rel32@lo+4
	s_addc_u32 s3, s3, __assert_fail@rel32@hi+12
	s_delay_alu instid0(SALU_CYCLE_1)
	s_swappc_b64 s[30:31], s[2:3]
	.section	.rodata,"a",@progbits
	.p2align	6, 0x0
	.amdhsa_kernel _Z16wvSplitK_hf_big_I6__halfLi64ELi7ELi16ELi8ELi1ELi3EEviiPKT_S3_PS1_ii
		.amdhsa_group_segment_fixed_size 0
		.amdhsa_private_segment_fixed_size 64
		.amdhsa_kernarg_size 296
		.amdhsa_user_sgpr_count 15
		.amdhsa_user_sgpr_dispatch_ptr 0
		.amdhsa_user_sgpr_queue_ptr 0
		.amdhsa_user_sgpr_kernarg_segment_ptr 1
		.amdhsa_user_sgpr_dispatch_id 0
		.amdhsa_user_sgpr_private_segment_size 0
		.amdhsa_wavefront_size32 1
		.amdhsa_uses_dynamic_stack 0
		.amdhsa_enable_private_segment 1
		.amdhsa_system_sgpr_workgroup_id_x 1
		.amdhsa_system_sgpr_workgroup_id_y 0
		.amdhsa_system_sgpr_workgroup_id_z 0
		.amdhsa_system_sgpr_workgroup_info 0
		.amdhsa_system_vgpr_workitem_id 0
		.amdhsa_next_free_vgpr 50
		.amdhsa_next_free_sgpr 34
		.amdhsa_reserve_vcc 1
		.amdhsa_float_round_mode_32 0
		.amdhsa_float_round_mode_16_64 0
		.amdhsa_float_denorm_mode_32 3
		.amdhsa_float_denorm_mode_16_64 3
		.amdhsa_dx10_clamp 1
		.amdhsa_ieee_mode 1
		.amdhsa_fp16_overflow 0
		.amdhsa_workgroup_processor_mode 1
		.amdhsa_memory_ordered 1
		.amdhsa_forward_progress 0
		.amdhsa_shared_vgpr_count 0
		.amdhsa_exception_fp_ieee_invalid_op 0
		.amdhsa_exception_fp_denorm_src 0
		.amdhsa_exception_fp_ieee_div_zero 0
		.amdhsa_exception_fp_ieee_overflow 0
		.amdhsa_exception_fp_ieee_underflow 0
		.amdhsa_exception_fp_ieee_inexact 0
		.amdhsa_exception_int_div_zero 0
	.end_amdhsa_kernel
	.section	.text._Z16wvSplitK_hf_big_I6__halfLi64ELi7ELi16ELi8ELi1ELi3EEviiPKT_S3_PS1_ii,"axG",@progbits,_Z16wvSplitK_hf_big_I6__halfLi64ELi7ELi16ELi8ELi1ELi3EEviiPKT_S3_PS1_ii,comdat
.Lfunc_end18:
	.size	_Z16wvSplitK_hf_big_I6__halfLi64ELi7ELi16ELi8ELi1ELi3EEviiPKT_S3_PS1_ii, .Lfunc_end18-_Z16wvSplitK_hf_big_I6__halfLi64ELi7ELi16ELi8ELi1ELi3EEviiPKT_S3_PS1_ii
                                        ; -- End function
	.section	.AMDGPU.csdata,"",@progbits
; Kernel info:
; codeLenInByte = 76
; NumSgprs: 36
; NumVgprs: 50
; ScratchSize: 64
; MemoryBound: 0
; FloatMode: 240
; IeeeMode: 1
; LDSByteSize: 0 bytes/workgroup (compile time only)
; SGPRBlocks: 4
; VGPRBlocks: 6
; NumSGPRsForWavesPerEU: 36
; NumVGPRsForWavesPerEU: 50
; Occupancy: 16
; WaveLimiterHint : 1
; COMPUTE_PGM_RSRC2:SCRATCH_EN: 1
; COMPUTE_PGM_RSRC2:USER_SGPR: 15
; COMPUTE_PGM_RSRC2:TRAP_HANDLER: 0
; COMPUTE_PGM_RSRC2:TGID_X_EN: 1
; COMPUTE_PGM_RSRC2:TGID_Y_EN: 0
; COMPUTE_PGM_RSRC2:TGID_Z_EN: 0
; COMPUTE_PGM_RSRC2:TIDIG_COMP_CNT: 0
	.section	.text._Z16wvSplitK_hf_sml_I6__halfLi64ELi4ELi16ELi8ELi1ELi4EEviiPKT_S3_PS1_ii,"axG",@progbits,_Z16wvSplitK_hf_sml_I6__halfLi64ELi4ELi16ELi8ELi1ELi4EEviiPKT_S3_PS1_ii,comdat
	.protected	_Z16wvSplitK_hf_sml_I6__halfLi64ELi4ELi16ELi8ELi1ELi4EEviiPKT_S3_PS1_ii ; -- Begin function _Z16wvSplitK_hf_sml_I6__halfLi64ELi4ELi16ELi8ELi1ELi4EEviiPKT_S3_PS1_ii
	.globl	_Z16wvSplitK_hf_sml_I6__halfLi64ELi4ELi16ELi8ELi1ELi4EEviiPKT_S3_PS1_ii
	.p2align	8
	.type	_Z16wvSplitK_hf_sml_I6__halfLi64ELi4ELi16ELi8ELi1ELi4EEviiPKT_S3_PS1_ii,@function
_Z16wvSplitK_hf_sml_I6__halfLi64ELi4ELi16ELi8ELi1ELi4EEviiPKT_S3_PS1_ii: ; @_Z16wvSplitK_hf_sml_I6__halfLi64ELi4ELi16ELi8ELi1ELi4EEviiPKT_S3_PS1_ii
; %bb.0:
	s_add_u32 s8, s0, 40
	s_addc_u32 s9, s1, 0
	s_getpc_b64 s[0:1]
	s_add_u32 s0, s0, __PRETTY_FUNCTION__._Z16wvSplitK_hf_sml_I6__halfLi64ELi4ELi16ELi8ELi1ELi4EEviiPKT_S3_PS1_ii@rel32@lo+4
	s_addc_u32 s1, s1, __PRETTY_FUNCTION__._Z16wvSplitK_hf_sml_I6__halfLi64ELi4ELi16ELi8ELi1ELi4EEviiPKT_S3_PS1_ii@rel32@hi+12
	v_dual_mov_b32 v0, 0x224 :: v_dual_mov_b32 v1, s0
	v_mov_b32_e32 v2, s1
	s_mov_b32 s32, 0
	s_getpc_b64 s[2:3]
	s_add_u32 s2, s2, __assert_fail@rel32@lo+4
	s_addc_u32 s3, s3, __assert_fail@rel32@hi+12
	s_delay_alu instid0(SALU_CYCLE_1)
	s_swappc_b64 s[30:31], s[2:3]
	.section	.rodata,"a",@progbits
	.p2align	6, 0x0
	.amdhsa_kernel _Z16wvSplitK_hf_sml_I6__halfLi64ELi4ELi16ELi8ELi1ELi4EEviiPKT_S3_PS1_ii
		.amdhsa_group_segment_fixed_size 0
		.amdhsa_private_segment_fixed_size 64
		.amdhsa_kernarg_size 296
		.amdhsa_user_sgpr_count 15
		.amdhsa_user_sgpr_dispatch_ptr 0
		.amdhsa_user_sgpr_queue_ptr 0
		.amdhsa_user_sgpr_kernarg_segment_ptr 1
		.amdhsa_user_sgpr_dispatch_id 0
		.amdhsa_user_sgpr_private_segment_size 0
		.amdhsa_wavefront_size32 1
		.amdhsa_uses_dynamic_stack 0
		.amdhsa_enable_private_segment 1
		.amdhsa_system_sgpr_workgroup_id_x 1
		.amdhsa_system_sgpr_workgroup_id_y 0
		.amdhsa_system_sgpr_workgroup_id_z 0
		.amdhsa_system_sgpr_workgroup_info 0
		.amdhsa_system_vgpr_workitem_id 0
		.amdhsa_next_free_vgpr 50
		.amdhsa_next_free_sgpr 34
		.amdhsa_reserve_vcc 1
		.amdhsa_float_round_mode_32 0
		.amdhsa_float_round_mode_16_64 0
		.amdhsa_float_denorm_mode_32 3
		.amdhsa_float_denorm_mode_16_64 3
		.amdhsa_dx10_clamp 1
		.amdhsa_ieee_mode 1
		.amdhsa_fp16_overflow 0
		.amdhsa_workgroup_processor_mode 1
		.amdhsa_memory_ordered 1
		.amdhsa_forward_progress 0
		.amdhsa_shared_vgpr_count 0
		.amdhsa_exception_fp_ieee_invalid_op 0
		.amdhsa_exception_fp_denorm_src 0
		.amdhsa_exception_fp_ieee_div_zero 0
		.amdhsa_exception_fp_ieee_overflow 0
		.amdhsa_exception_fp_ieee_underflow 0
		.amdhsa_exception_fp_ieee_inexact 0
		.amdhsa_exception_int_div_zero 0
	.end_amdhsa_kernel
	.section	.text._Z16wvSplitK_hf_sml_I6__halfLi64ELi4ELi16ELi8ELi1ELi4EEviiPKT_S3_PS1_ii,"axG",@progbits,_Z16wvSplitK_hf_sml_I6__halfLi64ELi4ELi16ELi8ELi1ELi4EEviiPKT_S3_PS1_ii,comdat
.Lfunc_end19:
	.size	_Z16wvSplitK_hf_sml_I6__halfLi64ELi4ELi16ELi8ELi1ELi4EEviiPKT_S3_PS1_ii, .Lfunc_end19-_Z16wvSplitK_hf_sml_I6__halfLi64ELi4ELi16ELi8ELi1ELi4EEviiPKT_S3_PS1_ii
                                        ; -- End function
	.section	.AMDGPU.csdata,"",@progbits
; Kernel info:
; codeLenInByte = 76
; NumSgprs: 36
; NumVgprs: 50
; ScratchSize: 64
; MemoryBound: 0
; FloatMode: 240
; IeeeMode: 1
; LDSByteSize: 0 bytes/workgroup (compile time only)
; SGPRBlocks: 4
; VGPRBlocks: 6
; NumSGPRsForWavesPerEU: 36
; NumVGPRsForWavesPerEU: 50
; Occupancy: 16
; WaveLimiterHint : 1
; COMPUTE_PGM_RSRC2:SCRATCH_EN: 1
; COMPUTE_PGM_RSRC2:USER_SGPR: 15
; COMPUTE_PGM_RSRC2:TRAP_HANDLER: 0
; COMPUTE_PGM_RSRC2:TGID_X_EN: 1
; COMPUTE_PGM_RSRC2:TGID_Y_EN: 0
; COMPUTE_PGM_RSRC2:TGID_Z_EN: 0
; COMPUTE_PGM_RSRC2:TIDIG_COMP_CNT: 0
	.section	.text._Z12wvSplitK_hf_I6__halfLi64ELi7ELi16ELi8ELi1ELi4EEviiPKT_S3_PS1_ii,"axG",@progbits,_Z12wvSplitK_hf_I6__halfLi64ELi7ELi16ELi8ELi1ELi4EEviiPKT_S3_PS1_ii,comdat
	.protected	_Z12wvSplitK_hf_I6__halfLi64ELi7ELi16ELi8ELi1ELi4EEviiPKT_S3_PS1_ii ; -- Begin function _Z12wvSplitK_hf_I6__halfLi64ELi7ELi16ELi8ELi1ELi4EEviiPKT_S3_PS1_ii
	.globl	_Z12wvSplitK_hf_I6__halfLi64ELi7ELi16ELi8ELi1ELi4EEviiPKT_S3_PS1_ii
	.p2align	8
	.type	_Z12wvSplitK_hf_I6__halfLi64ELi7ELi16ELi8ELi1ELi4EEviiPKT_S3_PS1_ii,@function
_Z12wvSplitK_hf_I6__halfLi64ELi7ELi16ELi8ELi1ELi4EEviiPKT_S3_PS1_ii: ; @_Z12wvSplitK_hf_I6__halfLi64ELi7ELi16ELi8ELi1ELi4EEviiPKT_S3_PS1_ii
; %bb.0:
	s_add_u32 s8, s0, 40
	s_addc_u32 s9, s1, 0
	s_getpc_b64 s[0:1]
	s_add_u32 s0, s0, __PRETTY_FUNCTION__._Z12wvSplitK_hf_I6__halfLi64ELi7ELi16ELi8ELi1ELi4EEviiPKT_S3_PS1_ii@rel32@lo+4
	s_addc_u32 s1, s1, __PRETTY_FUNCTION__._Z12wvSplitK_hf_I6__halfLi64ELi7ELi16ELi8ELi1ELi4EEviiPKT_S3_PS1_ii@rel32@hi+12
	v_dual_mov_b32 v0, 0x351 :: v_dual_mov_b32 v1, s0
	v_mov_b32_e32 v2, s1
	s_mov_b32 s32, 0
	s_getpc_b64 s[2:3]
	s_add_u32 s2, s2, __assert_fail@rel32@lo+4
	s_addc_u32 s3, s3, __assert_fail@rel32@hi+12
	s_delay_alu instid0(SALU_CYCLE_1)
	s_swappc_b64 s[30:31], s[2:3]
	.section	.rodata,"a",@progbits
	.p2align	6, 0x0
	.amdhsa_kernel _Z12wvSplitK_hf_I6__halfLi64ELi7ELi16ELi8ELi1ELi4EEviiPKT_S3_PS1_ii
		.amdhsa_group_segment_fixed_size 0
		.amdhsa_private_segment_fixed_size 64
		.amdhsa_kernarg_size 296
		.amdhsa_user_sgpr_count 15
		.amdhsa_user_sgpr_dispatch_ptr 0
		.amdhsa_user_sgpr_queue_ptr 0
		.amdhsa_user_sgpr_kernarg_segment_ptr 1
		.amdhsa_user_sgpr_dispatch_id 0
		.amdhsa_user_sgpr_private_segment_size 0
		.amdhsa_wavefront_size32 1
		.amdhsa_uses_dynamic_stack 0
		.amdhsa_enable_private_segment 1
		.amdhsa_system_sgpr_workgroup_id_x 1
		.amdhsa_system_sgpr_workgroup_id_y 0
		.amdhsa_system_sgpr_workgroup_id_z 0
		.amdhsa_system_sgpr_workgroup_info 0
		.amdhsa_system_vgpr_workitem_id 0
		.amdhsa_next_free_vgpr 50
		.amdhsa_next_free_sgpr 34
		.amdhsa_reserve_vcc 1
		.amdhsa_float_round_mode_32 0
		.amdhsa_float_round_mode_16_64 0
		.amdhsa_float_denorm_mode_32 3
		.amdhsa_float_denorm_mode_16_64 3
		.amdhsa_dx10_clamp 1
		.amdhsa_ieee_mode 1
		.amdhsa_fp16_overflow 0
		.amdhsa_workgroup_processor_mode 1
		.amdhsa_memory_ordered 1
		.amdhsa_forward_progress 0
		.amdhsa_shared_vgpr_count 0
		.amdhsa_exception_fp_ieee_invalid_op 0
		.amdhsa_exception_fp_denorm_src 0
		.amdhsa_exception_fp_ieee_div_zero 0
		.amdhsa_exception_fp_ieee_overflow 0
		.amdhsa_exception_fp_ieee_underflow 0
		.amdhsa_exception_fp_ieee_inexact 0
		.amdhsa_exception_int_div_zero 0
	.end_amdhsa_kernel
	.section	.text._Z12wvSplitK_hf_I6__halfLi64ELi7ELi16ELi8ELi1ELi4EEviiPKT_S3_PS1_ii,"axG",@progbits,_Z12wvSplitK_hf_I6__halfLi64ELi7ELi16ELi8ELi1ELi4EEviiPKT_S3_PS1_ii,comdat
.Lfunc_end20:
	.size	_Z12wvSplitK_hf_I6__halfLi64ELi7ELi16ELi8ELi1ELi4EEviiPKT_S3_PS1_ii, .Lfunc_end20-_Z12wvSplitK_hf_I6__halfLi64ELi7ELi16ELi8ELi1ELi4EEviiPKT_S3_PS1_ii
                                        ; -- End function
	.section	.AMDGPU.csdata,"",@progbits
; Kernel info:
; codeLenInByte = 76
; NumSgprs: 36
; NumVgprs: 50
; ScratchSize: 64
; MemoryBound: 0
; FloatMode: 240
; IeeeMode: 1
; LDSByteSize: 0 bytes/workgroup (compile time only)
; SGPRBlocks: 4
; VGPRBlocks: 6
; NumSGPRsForWavesPerEU: 36
; NumVGPRsForWavesPerEU: 50
; Occupancy: 16
; WaveLimiterHint : 1
; COMPUTE_PGM_RSRC2:SCRATCH_EN: 1
; COMPUTE_PGM_RSRC2:USER_SGPR: 15
; COMPUTE_PGM_RSRC2:TRAP_HANDLER: 0
; COMPUTE_PGM_RSRC2:TGID_X_EN: 1
; COMPUTE_PGM_RSRC2:TGID_Y_EN: 0
; COMPUTE_PGM_RSRC2:TGID_Z_EN: 0
; COMPUTE_PGM_RSRC2:TIDIG_COMP_CNT: 0
	.section	.text._Z16wvSplitK_hf_big_I6__halfLi64ELi7ELi16ELi8ELi1ELi4EEviiPKT_S3_PS1_ii,"axG",@progbits,_Z16wvSplitK_hf_big_I6__halfLi64ELi7ELi16ELi8ELi1ELi4EEviiPKT_S3_PS1_ii,comdat
	.protected	_Z16wvSplitK_hf_big_I6__halfLi64ELi7ELi16ELi8ELi1ELi4EEviiPKT_S3_PS1_ii ; -- Begin function _Z16wvSplitK_hf_big_I6__halfLi64ELi7ELi16ELi8ELi1ELi4EEviiPKT_S3_PS1_ii
	.globl	_Z16wvSplitK_hf_big_I6__halfLi64ELi7ELi16ELi8ELi1ELi4EEviiPKT_S3_PS1_ii
	.p2align	8
	.type	_Z16wvSplitK_hf_big_I6__halfLi64ELi7ELi16ELi8ELi1ELi4EEviiPKT_S3_PS1_ii,@function
_Z16wvSplitK_hf_big_I6__halfLi64ELi7ELi16ELi8ELi1ELi4EEviiPKT_S3_PS1_ii: ; @_Z16wvSplitK_hf_big_I6__halfLi64ELi7ELi16ELi8ELi1ELi4EEviiPKT_S3_PS1_ii
; %bb.0:
	s_add_u32 s8, s0, 40
	s_addc_u32 s9, s1, 0
	s_getpc_b64 s[0:1]
	s_add_u32 s0, s0, __PRETTY_FUNCTION__._Z16wvSplitK_hf_big_I6__halfLi64ELi7ELi16ELi8ELi1ELi4EEviiPKT_S3_PS1_ii@rel32@lo+4
	s_addc_u32 s1, s1, __PRETTY_FUNCTION__._Z16wvSplitK_hf_big_I6__halfLi64ELi7ELi16ELi8ELi1ELi4EEviiPKT_S3_PS1_ii@rel32@hi+12
	v_dual_mov_b32 v0, 0x4ad :: v_dual_mov_b32 v1, s0
	v_mov_b32_e32 v2, s1
	s_mov_b32 s32, 0
	s_getpc_b64 s[2:3]
	s_add_u32 s2, s2, __assert_fail@rel32@lo+4
	s_addc_u32 s3, s3, __assert_fail@rel32@hi+12
	s_delay_alu instid0(SALU_CYCLE_1)
	s_swappc_b64 s[30:31], s[2:3]
	.section	.rodata,"a",@progbits
	.p2align	6, 0x0
	.amdhsa_kernel _Z16wvSplitK_hf_big_I6__halfLi64ELi7ELi16ELi8ELi1ELi4EEviiPKT_S3_PS1_ii
		.amdhsa_group_segment_fixed_size 0
		.amdhsa_private_segment_fixed_size 64
		.amdhsa_kernarg_size 296
		.amdhsa_user_sgpr_count 15
		.amdhsa_user_sgpr_dispatch_ptr 0
		.amdhsa_user_sgpr_queue_ptr 0
		.amdhsa_user_sgpr_kernarg_segment_ptr 1
		.amdhsa_user_sgpr_dispatch_id 0
		.amdhsa_user_sgpr_private_segment_size 0
		.amdhsa_wavefront_size32 1
		.amdhsa_uses_dynamic_stack 0
		.amdhsa_enable_private_segment 1
		.amdhsa_system_sgpr_workgroup_id_x 1
		.amdhsa_system_sgpr_workgroup_id_y 0
		.amdhsa_system_sgpr_workgroup_id_z 0
		.amdhsa_system_sgpr_workgroup_info 0
		.amdhsa_system_vgpr_workitem_id 0
		.amdhsa_next_free_vgpr 50
		.amdhsa_next_free_sgpr 34
		.amdhsa_reserve_vcc 1
		.amdhsa_float_round_mode_32 0
		.amdhsa_float_round_mode_16_64 0
		.amdhsa_float_denorm_mode_32 3
		.amdhsa_float_denorm_mode_16_64 3
		.amdhsa_dx10_clamp 1
		.amdhsa_ieee_mode 1
		.amdhsa_fp16_overflow 0
		.amdhsa_workgroup_processor_mode 1
		.amdhsa_memory_ordered 1
		.amdhsa_forward_progress 0
		.amdhsa_shared_vgpr_count 0
		.amdhsa_exception_fp_ieee_invalid_op 0
		.amdhsa_exception_fp_denorm_src 0
		.amdhsa_exception_fp_ieee_div_zero 0
		.amdhsa_exception_fp_ieee_overflow 0
		.amdhsa_exception_fp_ieee_underflow 0
		.amdhsa_exception_fp_ieee_inexact 0
		.amdhsa_exception_int_div_zero 0
	.end_amdhsa_kernel
	.section	.text._Z16wvSplitK_hf_big_I6__halfLi64ELi7ELi16ELi8ELi1ELi4EEviiPKT_S3_PS1_ii,"axG",@progbits,_Z16wvSplitK_hf_big_I6__halfLi64ELi7ELi16ELi8ELi1ELi4EEviiPKT_S3_PS1_ii,comdat
.Lfunc_end21:
	.size	_Z16wvSplitK_hf_big_I6__halfLi64ELi7ELi16ELi8ELi1ELi4EEviiPKT_S3_PS1_ii, .Lfunc_end21-_Z16wvSplitK_hf_big_I6__halfLi64ELi7ELi16ELi8ELi1ELi4EEviiPKT_S3_PS1_ii
                                        ; -- End function
	.section	.AMDGPU.csdata,"",@progbits
; Kernel info:
; codeLenInByte = 76
; NumSgprs: 36
; NumVgprs: 50
; ScratchSize: 64
; MemoryBound: 0
; FloatMode: 240
; IeeeMode: 1
; LDSByteSize: 0 bytes/workgroup (compile time only)
; SGPRBlocks: 4
; VGPRBlocks: 6
; NumSGPRsForWavesPerEU: 36
; NumVGPRsForWavesPerEU: 50
; Occupancy: 16
; WaveLimiterHint : 1
; COMPUTE_PGM_RSRC2:SCRATCH_EN: 1
; COMPUTE_PGM_RSRC2:USER_SGPR: 15
; COMPUTE_PGM_RSRC2:TRAP_HANDLER: 0
; COMPUTE_PGM_RSRC2:TGID_X_EN: 1
; COMPUTE_PGM_RSRC2:TGID_Y_EN: 0
; COMPUTE_PGM_RSRC2:TGID_Z_EN: 0
; COMPUTE_PGM_RSRC2:TIDIG_COMP_CNT: 0
	.section	.text._Z16wvSplitK_hf_sml_I14__hip_bfloat16Li64ELi2ELi16ELi8ELi2ELi1EEviiPKT_S3_PS1_ii,"axG",@progbits,_Z16wvSplitK_hf_sml_I14__hip_bfloat16Li64ELi2ELi16ELi8ELi2ELi1EEviiPKT_S3_PS1_ii,comdat
	.protected	_Z16wvSplitK_hf_sml_I14__hip_bfloat16Li64ELi2ELi16ELi8ELi2ELi1EEviiPKT_S3_PS1_ii ; -- Begin function _Z16wvSplitK_hf_sml_I14__hip_bfloat16Li64ELi2ELi16ELi8ELi2ELi1EEviiPKT_S3_PS1_ii
	.globl	_Z16wvSplitK_hf_sml_I14__hip_bfloat16Li64ELi2ELi16ELi8ELi2ELi1EEviiPKT_S3_PS1_ii
	.p2align	8
	.type	_Z16wvSplitK_hf_sml_I14__hip_bfloat16Li64ELi2ELi16ELi8ELi2ELi1EEviiPKT_S3_PS1_ii,@function
_Z16wvSplitK_hf_sml_I14__hip_bfloat16Li64ELi2ELi16ELi8ELi2ELi1EEviiPKT_S3_PS1_ii: ; @_Z16wvSplitK_hf_sml_I14__hip_bfloat16Li64ELi2ELi16ELi8ELi2ELi1EEviiPKT_S3_PS1_ii
; %bb.0:
	s_add_u32 s8, s0, 40
	s_addc_u32 s9, s1, 0
	s_getpc_b64 s[0:1]
	s_add_u32 s0, s0, __PRETTY_FUNCTION__._Z16wvSplitK_hf_sml_I14__hip_bfloat16Li64ELi2ELi16ELi8ELi2ELi1EEviiPKT_S3_PS1_ii@rel32@lo+4
	s_addc_u32 s1, s1, __PRETTY_FUNCTION__._Z16wvSplitK_hf_sml_I14__hip_bfloat16Li64ELi2ELi16ELi8ELi2ELi1EEviiPKT_S3_PS1_ii@rel32@hi+12
	v_dual_mov_b32 v0, 0x224 :: v_dual_mov_b32 v1, s0
	v_mov_b32_e32 v2, s1
	s_mov_b32 s32, 0
	s_getpc_b64 s[2:3]
	s_add_u32 s2, s2, __assert_fail@rel32@lo+4
	s_addc_u32 s3, s3, __assert_fail@rel32@hi+12
	s_delay_alu instid0(SALU_CYCLE_1)
	s_swappc_b64 s[30:31], s[2:3]
	.section	.rodata,"a",@progbits
	.p2align	6, 0x0
	.amdhsa_kernel _Z16wvSplitK_hf_sml_I14__hip_bfloat16Li64ELi2ELi16ELi8ELi2ELi1EEviiPKT_S3_PS1_ii
		.amdhsa_group_segment_fixed_size 0
		.amdhsa_private_segment_fixed_size 64
		.amdhsa_kernarg_size 296
		.amdhsa_user_sgpr_count 15
		.amdhsa_user_sgpr_dispatch_ptr 0
		.amdhsa_user_sgpr_queue_ptr 0
		.amdhsa_user_sgpr_kernarg_segment_ptr 1
		.amdhsa_user_sgpr_dispatch_id 0
		.amdhsa_user_sgpr_private_segment_size 0
		.amdhsa_wavefront_size32 1
		.amdhsa_uses_dynamic_stack 0
		.amdhsa_enable_private_segment 1
		.amdhsa_system_sgpr_workgroup_id_x 1
		.amdhsa_system_sgpr_workgroup_id_y 0
		.amdhsa_system_sgpr_workgroup_id_z 0
		.amdhsa_system_sgpr_workgroup_info 0
		.amdhsa_system_vgpr_workitem_id 0
		.amdhsa_next_free_vgpr 50
		.amdhsa_next_free_sgpr 34
		.amdhsa_reserve_vcc 1
		.amdhsa_float_round_mode_32 0
		.amdhsa_float_round_mode_16_64 0
		.amdhsa_float_denorm_mode_32 3
		.amdhsa_float_denorm_mode_16_64 3
		.amdhsa_dx10_clamp 1
		.amdhsa_ieee_mode 1
		.amdhsa_fp16_overflow 0
		.amdhsa_workgroup_processor_mode 1
		.amdhsa_memory_ordered 1
		.amdhsa_forward_progress 0
		.amdhsa_shared_vgpr_count 0
		.amdhsa_exception_fp_ieee_invalid_op 0
		.amdhsa_exception_fp_denorm_src 0
		.amdhsa_exception_fp_ieee_div_zero 0
		.amdhsa_exception_fp_ieee_overflow 0
		.amdhsa_exception_fp_ieee_underflow 0
		.amdhsa_exception_fp_ieee_inexact 0
		.amdhsa_exception_int_div_zero 0
	.end_amdhsa_kernel
	.section	.text._Z16wvSplitK_hf_sml_I14__hip_bfloat16Li64ELi2ELi16ELi8ELi2ELi1EEviiPKT_S3_PS1_ii,"axG",@progbits,_Z16wvSplitK_hf_sml_I14__hip_bfloat16Li64ELi2ELi16ELi8ELi2ELi1EEviiPKT_S3_PS1_ii,comdat
.Lfunc_end22:
	.size	_Z16wvSplitK_hf_sml_I14__hip_bfloat16Li64ELi2ELi16ELi8ELi2ELi1EEviiPKT_S3_PS1_ii, .Lfunc_end22-_Z16wvSplitK_hf_sml_I14__hip_bfloat16Li64ELi2ELi16ELi8ELi2ELi1EEviiPKT_S3_PS1_ii
                                        ; -- End function
	.section	.AMDGPU.csdata,"",@progbits
; Kernel info:
; codeLenInByte = 76
; NumSgprs: 36
; NumVgprs: 50
; ScratchSize: 64
; MemoryBound: 0
; FloatMode: 240
; IeeeMode: 1
; LDSByteSize: 0 bytes/workgroup (compile time only)
; SGPRBlocks: 4
; VGPRBlocks: 6
; NumSGPRsForWavesPerEU: 36
; NumVGPRsForWavesPerEU: 50
; Occupancy: 16
; WaveLimiterHint : 1
; COMPUTE_PGM_RSRC2:SCRATCH_EN: 1
; COMPUTE_PGM_RSRC2:USER_SGPR: 15
; COMPUTE_PGM_RSRC2:TRAP_HANDLER: 0
; COMPUTE_PGM_RSRC2:TGID_X_EN: 1
; COMPUTE_PGM_RSRC2:TGID_Y_EN: 0
; COMPUTE_PGM_RSRC2:TGID_Z_EN: 0
; COMPUTE_PGM_RSRC2:TIDIG_COMP_CNT: 0
	.section	.text._Z12wvSplitK_hf_I14__hip_bfloat16Li64ELi2ELi16ELi8ELi2ELi1EEviiPKT_S3_PS1_ii,"axG",@progbits,_Z12wvSplitK_hf_I14__hip_bfloat16Li64ELi2ELi16ELi8ELi2ELi1EEviiPKT_S3_PS1_ii,comdat
	.protected	_Z12wvSplitK_hf_I14__hip_bfloat16Li64ELi2ELi16ELi8ELi2ELi1EEviiPKT_S3_PS1_ii ; -- Begin function _Z12wvSplitK_hf_I14__hip_bfloat16Li64ELi2ELi16ELi8ELi2ELi1EEviiPKT_S3_PS1_ii
	.globl	_Z12wvSplitK_hf_I14__hip_bfloat16Li64ELi2ELi16ELi8ELi2ELi1EEviiPKT_S3_PS1_ii
	.p2align	8
	.type	_Z12wvSplitK_hf_I14__hip_bfloat16Li64ELi2ELi16ELi8ELi2ELi1EEviiPKT_S3_PS1_ii,@function
_Z12wvSplitK_hf_I14__hip_bfloat16Li64ELi2ELi16ELi8ELi2ELi1EEviiPKT_S3_PS1_ii: ; @_Z12wvSplitK_hf_I14__hip_bfloat16Li64ELi2ELi16ELi8ELi2ELi1EEviiPKT_S3_PS1_ii
; %bb.0:
	s_add_u32 s8, s0, 40
	s_addc_u32 s9, s1, 0
	s_getpc_b64 s[0:1]
	s_add_u32 s0, s0, __PRETTY_FUNCTION__._Z12wvSplitK_hf_I14__hip_bfloat16Li64ELi2ELi16ELi8ELi2ELi1EEviiPKT_S3_PS1_ii@rel32@lo+4
	s_addc_u32 s1, s1, __PRETTY_FUNCTION__._Z12wvSplitK_hf_I14__hip_bfloat16Li64ELi2ELi16ELi8ELi2ELi1EEviiPKT_S3_PS1_ii@rel32@hi+12
	v_dual_mov_b32 v0, 0x351 :: v_dual_mov_b32 v1, s0
	v_mov_b32_e32 v2, s1
	s_mov_b32 s32, 0
	s_getpc_b64 s[2:3]
	s_add_u32 s2, s2, __assert_fail@rel32@lo+4
	s_addc_u32 s3, s3, __assert_fail@rel32@hi+12
	s_delay_alu instid0(SALU_CYCLE_1)
	s_swappc_b64 s[30:31], s[2:3]
	.section	.rodata,"a",@progbits
	.p2align	6, 0x0
	.amdhsa_kernel _Z12wvSplitK_hf_I14__hip_bfloat16Li64ELi2ELi16ELi8ELi2ELi1EEviiPKT_S3_PS1_ii
		.amdhsa_group_segment_fixed_size 0
		.amdhsa_private_segment_fixed_size 64
		.amdhsa_kernarg_size 296
		.amdhsa_user_sgpr_count 15
		.amdhsa_user_sgpr_dispatch_ptr 0
		.amdhsa_user_sgpr_queue_ptr 0
		.amdhsa_user_sgpr_kernarg_segment_ptr 1
		.amdhsa_user_sgpr_dispatch_id 0
		.amdhsa_user_sgpr_private_segment_size 0
		.amdhsa_wavefront_size32 1
		.amdhsa_uses_dynamic_stack 0
		.amdhsa_enable_private_segment 1
		.amdhsa_system_sgpr_workgroup_id_x 1
		.amdhsa_system_sgpr_workgroup_id_y 0
		.amdhsa_system_sgpr_workgroup_id_z 0
		.amdhsa_system_sgpr_workgroup_info 0
		.amdhsa_system_vgpr_workitem_id 0
		.amdhsa_next_free_vgpr 50
		.amdhsa_next_free_sgpr 34
		.amdhsa_reserve_vcc 1
		.amdhsa_float_round_mode_32 0
		.amdhsa_float_round_mode_16_64 0
		.amdhsa_float_denorm_mode_32 3
		.amdhsa_float_denorm_mode_16_64 3
		.amdhsa_dx10_clamp 1
		.amdhsa_ieee_mode 1
		.amdhsa_fp16_overflow 0
		.amdhsa_workgroup_processor_mode 1
		.amdhsa_memory_ordered 1
		.amdhsa_forward_progress 0
		.amdhsa_shared_vgpr_count 0
		.amdhsa_exception_fp_ieee_invalid_op 0
		.amdhsa_exception_fp_denorm_src 0
		.amdhsa_exception_fp_ieee_div_zero 0
		.amdhsa_exception_fp_ieee_overflow 0
		.amdhsa_exception_fp_ieee_underflow 0
		.amdhsa_exception_fp_ieee_inexact 0
		.amdhsa_exception_int_div_zero 0
	.end_amdhsa_kernel
	.section	.text._Z12wvSplitK_hf_I14__hip_bfloat16Li64ELi2ELi16ELi8ELi2ELi1EEviiPKT_S3_PS1_ii,"axG",@progbits,_Z12wvSplitK_hf_I14__hip_bfloat16Li64ELi2ELi16ELi8ELi2ELi1EEviiPKT_S3_PS1_ii,comdat
.Lfunc_end23:
	.size	_Z12wvSplitK_hf_I14__hip_bfloat16Li64ELi2ELi16ELi8ELi2ELi1EEviiPKT_S3_PS1_ii, .Lfunc_end23-_Z12wvSplitK_hf_I14__hip_bfloat16Li64ELi2ELi16ELi8ELi2ELi1EEviiPKT_S3_PS1_ii
                                        ; -- End function
	.section	.AMDGPU.csdata,"",@progbits
; Kernel info:
; codeLenInByte = 76
; NumSgprs: 36
; NumVgprs: 50
; ScratchSize: 64
; MemoryBound: 0
; FloatMode: 240
; IeeeMode: 1
; LDSByteSize: 0 bytes/workgroup (compile time only)
; SGPRBlocks: 4
; VGPRBlocks: 6
; NumSGPRsForWavesPerEU: 36
; NumVGPRsForWavesPerEU: 50
; Occupancy: 16
; WaveLimiterHint : 1
; COMPUTE_PGM_RSRC2:SCRATCH_EN: 1
; COMPUTE_PGM_RSRC2:USER_SGPR: 15
; COMPUTE_PGM_RSRC2:TRAP_HANDLER: 0
; COMPUTE_PGM_RSRC2:TGID_X_EN: 1
; COMPUTE_PGM_RSRC2:TGID_Y_EN: 0
; COMPUTE_PGM_RSRC2:TGID_Z_EN: 0
; COMPUTE_PGM_RSRC2:TIDIG_COMP_CNT: 0
	.section	.text._Z16wvSplitK_hf_big_I14__hip_bfloat16Li64ELi2ELi16ELi8ELi2ELi1EEviiPKT_S3_PS1_ii,"axG",@progbits,_Z16wvSplitK_hf_big_I14__hip_bfloat16Li64ELi2ELi16ELi8ELi2ELi1EEviiPKT_S3_PS1_ii,comdat
	.protected	_Z16wvSplitK_hf_big_I14__hip_bfloat16Li64ELi2ELi16ELi8ELi2ELi1EEviiPKT_S3_PS1_ii ; -- Begin function _Z16wvSplitK_hf_big_I14__hip_bfloat16Li64ELi2ELi16ELi8ELi2ELi1EEviiPKT_S3_PS1_ii
	.globl	_Z16wvSplitK_hf_big_I14__hip_bfloat16Li64ELi2ELi16ELi8ELi2ELi1EEviiPKT_S3_PS1_ii
	.p2align	8
	.type	_Z16wvSplitK_hf_big_I14__hip_bfloat16Li64ELi2ELi16ELi8ELi2ELi1EEviiPKT_S3_PS1_ii,@function
_Z16wvSplitK_hf_big_I14__hip_bfloat16Li64ELi2ELi16ELi8ELi2ELi1EEviiPKT_S3_PS1_ii: ; @_Z16wvSplitK_hf_big_I14__hip_bfloat16Li64ELi2ELi16ELi8ELi2ELi1EEviiPKT_S3_PS1_ii
; %bb.0:
	s_add_u32 s8, s0, 40
	s_addc_u32 s9, s1, 0
	s_getpc_b64 s[0:1]
	s_add_u32 s0, s0, __PRETTY_FUNCTION__._Z16wvSplitK_hf_big_I14__hip_bfloat16Li64ELi2ELi16ELi8ELi2ELi1EEviiPKT_S3_PS1_ii@rel32@lo+4
	s_addc_u32 s1, s1, __PRETTY_FUNCTION__._Z16wvSplitK_hf_big_I14__hip_bfloat16Li64ELi2ELi16ELi8ELi2ELi1EEviiPKT_S3_PS1_ii@rel32@hi+12
	v_dual_mov_b32 v0, 0x4ad :: v_dual_mov_b32 v1, s0
	v_mov_b32_e32 v2, s1
	s_mov_b32 s32, 0
	s_getpc_b64 s[2:3]
	s_add_u32 s2, s2, __assert_fail@rel32@lo+4
	s_addc_u32 s3, s3, __assert_fail@rel32@hi+12
	s_delay_alu instid0(SALU_CYCLE_1)
	s_swappc_b64 s[30:31], s[2:3]
	.section	.rodata,"a",@progbits
	.p2align	6, 0x0
	.amdhsa_kernel _Z16wvSplitK_hf_big_I14__hip_bfloat16Li64ELi2ELi16ELi8ELi2ELi1EEviiPKT_S3_PS1_ii
		.amdhsa_group_segment_fixed_size 0
		.amdhsa_private_segment_fixed_size 64
		.amdhsa_kernarg_size 296
		.amdhsa_user_sgpr_count 15
		.amdhsa_user_sgpr_dispatch_ptr 0
		.amdhsa_user_sgpr_queue_ptr 0
		.amdhsa_user_sgpr_kernarg_segment_ptr 1
		.amdhsa_user_sgpr_dispatch_id 0
		.amdhsa_user_sgpr_private_segment_size 0
		.amdhsa_wavefront_size32 1
		.amdhsa_uses_dynamic_stack 0
		.amdhsa_enable_private_segment 1
		.amdhsa_system_sgpr_workgroup_id_x 1
		.amdhsa_system_sgpr_workgroup_id_y 0
		.amdhsa_system_sgpr_workgroup_id_z 0
		.amdhsa_system_sgpr_workgroup_info 0
		.amdhsa_system_vgpr_workitem_id 0
		.amdhsa_next_free_vgpr 50
		.amdhsa_next_free_sgpr 34
		.amdhsa_reserve_vcc 1
		.amdhsa_float_round_mode_32 0
		.amdhsa_float_round_mode_16_64 0
		.amdhsa_float_denorm_mode_32 3
		.amdhsa_float_denorm_mode_16_64 3
		.amdhsa_dx10_clamp 1
		.amdhsa_ieee_mode 1
		.amdhsa_fp16_overflow 0
		.amdhsa_workgroup_processor_mode 1
		.amdhsa_memory_ordered 1
		.amdhsa_forward_progress 0
		.amdhsa_shared_vgpr_count 0
		.amdhsa_exception_fp_ieee_invalid_op 0
		.amdhsa_exception_fp_denorm_src 0
		.amdhsa_exception_fp_ieee_div_zero 0
		.amdhsa_exception_fp_ieee_overflow 0
		.amdhsa_exception_fp_ieee_underflow 0
		.amdhsa_exception_fp_ieee_inexact 0
		.amdhsa_exception_int_div_zero 0
	.end_amdhsa_kernel
	.section	.text._Z16wvSplitK_hf_big_I14__hip_bfloat16Li64ELi2ELi16ELi8ELi2ELi1EEviiPKT_S3_PS1_ii,"axG",@progbits,_Z16wvSplitK_hf_big_I14__hip_bfloat16Li64ELi2ELi16ELi8ELi2ELi1EEviiPKT_S3_PS1_ii,comdat
.Lfunc_end24:
	.size	_Z16wvSplitK_hf_big_I14__hip_bfloat16Li64ELi2ELi16ELi8ELi2ELi1EEviiPKT_S3_PS1_ii, .Lfunc_end24-_Z16wvSplitK_hf_big_I14__hip_bfloat16Li64ELi2ELi16ELi8ELi2ELi1EEviiPKT_S3_PS1_ii
                                        ; -- End function
	.section	.AMDGPU.csdata,"",@progbits
; Kernel info:
; codeLenInByte = 76
; NumSgprs: 36
; NumVgprs: 50
; ScratchSize: 64
; MemoryBound: 0
; FloatMode: 240
; IeeeMode: 1
; LDSByteSize: 0 bytes/workgroup (compile time only)
; SGPRBlocks: 4
; VGPRBlocks: 6
; NumSGPRsForWavesPerEU: 36
; NumVGPRsForWavesPerEU: 50
; Occupancy: 16
; WaveLimiterHint : 1
; COMPUTE_PGM_RSRC2:SCRATCH_EN: 1
; COMPUTE_PGM_RSRC2:USER_SGPR: 15
; COMPUTE_PGM_RSRC2:TRAP_HANDLER: 0
; COMPUTE_PGM_RSRC2:TGID_X_EN: 1
; COMPUTE_PGM_RSRC2:TGID_Y_EN: 0
; COMPUTE_PGM_RSRC2:TGID_Z_EN: 0
; COMPUTE_PGM_RSRC2:TIDIG_COMP_CNT: 0
	.section	.text._Z16wvSplitK_hf_sml_I14__hip_bfloat16Li64ELi2ELi16ELi8ELi2ELi2EEviiPKT_S3_PS1_ii,"axG",@progbits,_Z16wvSplitK_hf_sml_I14__hip_bfloat16Li64ELi2ELi16ELi8ELi2ELi2EEviiPKT_S3_PS1_ii,comdat
	.protected	_Z16wvSplitK_hf_sml_I14__hip_bfloat16Li64ELi2ELi16ELi8ELi2ELi2EEviiPKT_S3_PS1_ii ; -- Begin function _Z16wvSplitK_hf_sml_I14__hip_bfloat16Li64ELi2ELi16ELi8ELi2ELi2EEviiPKT_S3_PS1_ii
	.globl	_Z16wvSplitK_hf_sml_I14__hip_bfloat16Li64ELi2ELi16ELi8ELi2ELi2EEviiPKT_S3_PS1_ii
	.p2align	8
	.type	_Z16wvSplitK_hf_sml_I14__hip_bfloat16Li64ELi2ELi16ELi8ELi2ELi2EEviiPKT_S3_PS1_ii,@function
_Z16wvSplitK_hf_sml_I14__hip_bfloat16Li64ELi2ELi16ELi8ELi2ELi2EEviiPKT_S3_PS1_ii: ; @_Z16wvSplitK_hf_sml_I14__hip_bfloat16Li64ELi2ELi16ELi8ELi2ELi2EEviiPKT_S3_PS1_ii
; %bb.0:
	s_add_u32 s8, s0, 40
	s_addc_u32 s9, s1, 0
	s_getpc_b64 s[0:1]
	s_add_u32 s0, s0, __PRETTY_FUNCTION__._Z16wvSplitK_hf_sml_I14__hip_bfloat16Li64ELi2ELi16ELi8ELi2ELi2EEviiPKT_S3_PS1_ii@rel32@lo+4
	s_addc_u32 s1, s1, __PRETTY_FUNCTION__._Z16wvSplitK_hf_sml_I14__hip_bfloat16Li64ELi2ELi16ELi8ELi2ELi2EEviiPKT_S3_PS1_ii@rel32@hi+12
	v_dual_mov_b32 v0, 0x224 :: v_dual_mov_b32 v1, s0
	v_mov_b32_e32 v2, s1
	s_mov_b32 s32, 0
	s_getpc_b64 s[2:3]
	s_add_u32 s2, s2, __assert_fail@rel32@lo+4
	s_addc_u32 s3, s3, __assert_fail@rel32@hi+12
	s_delay_alu instid0(SALU_CYCLE_1)
	s_swappc_b64 s[30:31], s[2:3]
	.section	.rodata,"a",@progbits
	.p2align	6, 0x0
	.amdhsa_kernel _Z16wvSplitK_hf_sml_I14__hip_bfloat16Li64ELi2ELi16ELi8ELi2ELi2EEviiPKT_S3_PS1_ii
		.amdhsa_group_segment_fixed_size 0
		.amdhsa_private_segment_fixed_size 64
		.amdhsa_kernarg_size 296
		.amdhsa_user_sgpr_count 15
		.amdhsa_user_sgpr_dispatch_ptr 0
		.amdhsa_user_sgpr_queue_ptr 0
		.amdhsa_user_sgpr_kernarg_segment_ptr 1
		.amdhsa_user_sgpr_dispatch_id 0
		.amdhsa_user_sgpr_private_segment_size 0
		.amdhsa_wavefront_size32 1
		.amdhsa_uses_dynamic_stack 0
		.amdhsa_enable_private_segment 1
		.amdhsa_system_sgpr_workgroup_id_x 1
		.amdhsa_system_sgpr_workgroup_id_y 0
		.amdhsa_system_sgpr_workgroup_id_z 0
		.amdhsa_system_sgpr_workgroup_info 0
		.amdhsa_system_vgpr_workitem_id 0
		.amdhsa_next_free_vgpr 50
		.amdhsa_next_free_sgpr 34
		.amdhsa_reserve_vcc 1
		.amdhsa_float_round_mode_32 0
		.amdhsa_float_round_mode_16_64 0
		.amdhsa_float_denorm_mode_32 3
		.amdhsa_float_denorm_mode_16_64 3
		.amdhsa_dx10_clamp 1
		.amdhsa_ieee_mode 1
		.amdhsa_fp16_overflow 0
		.amdhsa_workgroup_processor_mode 1
		.amdhsa_memory_ordered 1
		.amdhsa_forward_progress 0
		.amdhsa_shared_vgpr_count 0
		.amdhsa_exception_fp_ieee_invalid_op 0
		.amdhsa_exception_fp_denorm_src 0
		.amdhsa_exception_fp_ieee_div_zero 0
		.amdhsa_exception_fp_ieee_overflow 0
		.amdhsa_exception_fp_ieee_underflow 0
		.amdhsa_exception_fp_ieee_inexact 0
		.amdhsa_exception_int_div_zero 0
	.end_amdhsa_kernel
	.section	.text._Z16wvSplitK_hf_sml_I14__hip_bfloat16Li64ELi2ELi16ELi8ELi2ELi2EEviiPKT_S3_PS1_ii,"axG",@progbits,_Z16wvSplitK_hf_sml_I14__hip_bfloat16Li64ELi2ELi16ELi8ELi2ELi2EEviiPKT_S3_PS1_ii,comdat
.Lfunc_end25:
	.size	_Z16wvSplitK_hf_sml_I14__hip_bfloat16Li64ELi2ELi16ELi8ELi2ELi2EEviiPKT_S3_PS1_ii, .Lfunc_end25-_Z16wvSplitK_hf_sml_I14__hip_bfloat16Li64ELi2ELi16ELi8ELi2ELi2EEviiPKT_S3_PS1_ii
                                        ; -- End function
	.section	.AMDGPU.csdata,"",@progbits
; Kernel info:
; codeLenInByte = 76
; NumSgprs: 36
; NumVgprs: 50
; ScratchSize: 64
; MemoryBound: 0
; FloatMode: 240
; IeeeMode: 1
; LDSByteSize: 0 bytes/workgroup (compile time only)
; SGPRBlocks: 4
; VGPRBlocks: 6
; NumSGPRsForWavesPerEU: 36
; NumVGPRsForWavesPerEU: 50
; Occupancy: 16
; WaveLimiterHint : 1
; COMPUTE_PGM_RSRC2:SCRATCH_EN: 1
; COMPUTE_PGM_RSRC2:USER_SGPR: 15
; COMPUTE_PGM_RSRC2:TRAP_HANDLER: 0
; COMPUTE_PGM_RSRC2:TGID_X_EN: 1
; COMPUTE_PGM_RSRC2:TGID_Y_EN: 0
; COMPUTE_PGM_RSRC2:TGID_Z_EN: 0
; COMPUTE_PGM_RSRC2:TIDIG_COMP_CNT: 0
	.section	.text._Z12wvSplitK_hf_I14__hip_bfloat16Li64ELi2ELi16ELi8ELi2ELi2EEviiPKT_S3_PS1_ii,"axG",@progbits,_Z12wvSplitK_hf_I14__hip_bfloat16Li64ELi2ELi16ELi8ELi2ELi2EEviiPKT_S3_PS1_ii,comdat
	.protected	_Z12wvSplitK_hf_I14__hip_bfloat16Li64ELi2ELi16ELi8ELi2ELi2EEviiPKT_S3_PS1_ii ; -- Begin function _Z12wvSplitK_hf_I14__hip_bfloat16Li64ELi2ELi16ELi8ELi2ELi2EEviiPKT_S3_PS1_ii
	.globl	_Z12wvSplitK_hf_I14__hip_bfloat16Li64ELi2ELi16ELi8ELi2ELi2EEviiPKT_S3_PS1_ii
	.p2align	8
	.type	_Z12wvSplitK_hf_I14__hip_bfloat16Li64ELi2ELi16ELi8ELi2ELi2EEviiPKT_S3_PS1_ii,@function
_Z12wvSplitK_hf_I14__hip_bfloat16Li64ELi2ELi16ELi8ELi2ELi2EEviiPKT_S3_PS1_ii: ; @_Z12wvSplitK_hf_I14__hip_bfloat16Li64ELi2ELi16ELi8ELi2ELi2EEviiPKT_S3_PS1_ii
; %bb.0:
	s_add_u32 s8, s0, 40
	s_addc_u32 s9, s1, 0
	s_getpc_b64 s[0:1]
	s_add_u32 s0, s0, __PRETTY_FUNCTION__._Z12wvSplitK_hf_I14__hip_bfloat16Li64ELi2ELi16ELi8ELi2ELi2EEviiPKT_S3_PS1_ii@rel32@lo+4
	s_addc_u32 s1, s1, __PRETTY_FUNCTION__._Z12wvSplitK_hf_I14__hip_bfloat16Li64ELi2ELi16ELi8ELi2ELi2EEviiPKT_S3_PS1_ii@rel32@hi+12
	v_dual_mov_b32 v0, 0x351 :: v_dual_mov_b32 v1, s0
	v_mov_b32_e32 v2, s1
	s_mov_b32 s32, 0
	s_getpc_b64 s[2:3]
	s_add_u32 s2, s2, __assert_fail@rel32@lo+4
	s_addc_u32 s3, s3, __assert_fail@rel32@hi+12
	s_delay_alu instid0(SALU_CYCLE_1)
	s_swappc_b64 s[30:31], s[2:3]
	.section	.rodata,"a",@progbits
	.p2align	6, 0x0
	.amdhsa_kernel _Z12wvSplitK_hf_I14__hip_bfloat16Li64ELi2ELi16ELi8ELi2ELi2EEviiPKT_S3_PS1_ii
		.amdhsa_group_segment_fixed_size 0
		.amdhsa_private_segment_fixed_size 64
		.amdhsa_kernarg_size 296
		.amdhsa_user_sgpr_count 15
		.amdhsa_user_sgpr_dispatch_ptr 0
		.amdhsa_user_sgpr_queue_ptr 0
		.amdhsa_user_sgpr_kernarg_segment_ptr 1
		.amdhsa_user_sgpr_dispatch_id 0
		.amdhsa_user_sgpr_private_segment_size 0
		.amdhsa_wavefront_size32 1
		.amdhsa_uses_dynamic_stack 0
		.amdhsa_enable_private_segment 1
		.amdhsa_system_sgpr_workgroup_id_x 1
		.amdhsa_system_sgpr_workgroup_id_y 0
		.amdhsa_system_sgpr_workgroup_id_z 0
		.amdhsa_system_sgpr_workgroup_info 0
		.amdhsa_system_vgpr_workitem_id 0
		.amdhsa_next_free_vgpr 50
		.amdhsa_next_free_sgpr 34
		.amdhsa_reserve_vcc 1
		.amdhsa_float_round_mode_32 0
		.amdhsa_float_round_mode_16_64 0
		.amdhsa_float_denorm_mode_32 3
		.amdhsa_float_denorm_mode_16_64 3
		.amdhsa_dx10_clamp 1
		.amdhsa_ieee_mode 1
		.amdhsa_fp16_overflow 0
		.amdhsa_workgroup_processor_mode 1
		.amdhsa_memory_ordered 1
		.amdhsa_forward_progress 0
		.amdhsa_shared_vgpr_count 0
		.amdhsa_exception_fp_ieee_invalid_op 0
		.amdhsa_exception_fp_denorm_src 0
		.amdhsa_exception_fp_ieee_div_zero 0
		.amdhsa_exception_fp_ieee_overflow 0
		.amdhsa_exception_fp_ieee_underflow 0
		.amdhsa_exception_fp_ieee_inexact 0
		.amdhsa_exception_int_div_zero 0
	.end_amdhsa_kernel
	.section	.text._Z12wvSplitK_hf_I14__hip_bfloat16Li64ELi2ELi16ELi8ELi2ELi2EEviiPKT_S3_PS1_ii,"axG",@progbits,_Z12wvSplitK_hf_I14__hip_bfloat16Li64ELi2ELi16ELi8ELi2ELi2EEviiPKT_S3_PS1_ii,comdat
.Lfunc_end26:
	.size	_Z12wvSplitK_hf_I14__hip_bfloat16Li64ELi2ELi16ELi8ELi2ELi2EEviiPKT_S3_PS1_ii, .Lfunc_end26-_Z12wvSplitK_hf_I14__hip_bfloat16Li64ELi2ELi16ELi8ELi2ELi2EEviiPKT_S3_PS1_ii
                                        ; -- End function
	.section	.AMDGPU.csdata,"",@progbits
; Kernel info:
; codeLenInByte = 76
; NumSgprs: 36
; NumVgprs: 50
; ScratchSize: 64
; MemoryBound: 0
; FloatMode: 240
; IeeeMode: 1
; LDSByteSize: 0 bytes/workgroup (compile time only)
; SGPRBlocks: 4
; VGPRBlocks: 6
; NumSGPRsForWavesPerEU: 36
; NumVGPRsForWavesPerEU: 50
; Occupancy: 16
; WaveLimiterHint : 1
; COMPUTE_PGM_RSRC2:SCRATCH_EN: 1
; COMPUTE_PGM_RSRC2:USER_SGPR: 15
; COMPUTE_PGM_RSRC2:TRAP_HANDLER: 0
; COMPUTE_PGM_RSRC2:TGID_X_EN: 1
; COMPUTE_PGM_RSRC2:TGID_Y_EN: 0
; COMPUTE_PGM_RSRC2:TGID_Z_EN: 0
; COMPUTE_PGM_RSRC2:TIDIG_COMP_CNT: 0
	.section	.text._Z16wvSplitK_hf_big_I14__hip_bfloat16Li64ELi2ELi16ELi8ELi2ELi2EEviiPKT_S3_PS1_ii,"axG",@progbits,_Z16wvSplitK_hf_big_I14__hip_bfloat16Li64ELi2ELi16ELi8ELi2ELi2EEviiPKT_S3_PS1_ii,comdat
	.protected	_Z16wvSplitK_hf_big_I14__hip_bfloat16Li64ELi2ELi16ELi8ELi2ELi2EEviiPKT_S3_PS1_ii ; -- Begin function _Z16wvSplitK_hf_big_I14__hip_bfloat16Li64ELi2ELi16ELi8ELi2ELi2EEviiPKT_S3_PS1_ii
	.globl	_Z16wvSplitK_hf_big_I14__hip_bfloat16Li64ELi2ELi16ELi8ELi2ELi2EEviiPKT_S3_PS1_ii
	.p2align	8
	.type	_Z16wvSplitK_hf_big_I14__hip_bfloat16Li64ELi2ELi16ELi8ELi2ELi2EEviiPKT_S3_PS1_ii,@function
_Z16wvSplitK_hf_big_I14__hip_bfloat16Li64ELi2ELi16ELi8ELi2ELi2EEviiPKT_S3_PS1_ii: ; @_Z16wvSplitK_hf_big_I14__hip_bfloat16Li64ELi2ELi16ELi8ELi2ELi2EEviiPKT_S3_PS1_ii
; %bb.0:
	s_add_u32 s8, s0, 40
	s_addc_u32 s9, s1, 0
	s_getpc_b64 s[0:1]
	s_add_u32 s0, s0, __PRETTY_FUNCTION__._Z16wvSplitK_hf_big_I14__hip_bfloat16Li64ELi2ELi16ELi8ELi2ELi2EEviiPKT_S3_PS1_ii@rel32@lo+4
	s_addc_u32 s1, s1, __PRETTY_FUNCTION__._Z16wvSplitK_hf_big_I14__hip_bfloat16Li64ELi2ELi16ELi8ELi2ELi2EEviiPKT_S3_PS1_ii@rel32@hi+12
	v_dual_mov_b32 v0, 0x4ad :: v_dual_mov_b32 v1, s0
	v_mov_b32_e32 v2, s1
	s_mov_b32 s32, 0
	s_getpc_b64 s[2:3]
	s_add_u32 s2, s2, __assert_fail@rel32@lo+4
	s_addc_u32 s3, s3, __assert_fail@rel32@hi+12
	s_delay_alu instid0(SALU_CYCLE_1)
	s_swappc_b64 s[30:31], s[2:3]
	.section	.rodata,"a",@progbits
	.p2align	6, 0x0
	.amdhsa_kernel _Z16wvSplitK_hf_big_I14__hip_bfloat16Li64ELi2ELi16ELi8ELi2ELi2EEviiPKT_S3_PS1_ii
		.amdhsa_group_segment_fixed_size 0
		.amdhsa_private_segment_fixed_size 64
		.amdhsa_kernarg_size 296
		.amdhsa_user_sgpr_count 15
		.amdhsa_user_sgpr_dispatch_ptr 0
		.amdhsa_user_sgpr_queue_ptr 0
		.amdhsa_user_sgpr_kernarg_segment_ptr 1
		.amdhsa_user_sgpr_dispatch_id 0
		.amdhsa_user_sgpr_private_segment_size 0
		.amdhsa_wavefront_size32 1
		.amdhsa_uses_dynamic_stack 0
		.amdhsa_enable_private_segment 1
		.amdhsa_system_sgpr_workgroup_id_x 1
		.amdhsa_system_sgpr_workgroup_id_y 0
		.amdhsa_system_sgpr_workgroup_id_z 0
		.amdhsa_system_sgpr_workgroup_info 0
		.amdhsa_system_vgpr_workitem_id 0
		.amdhsa_next_free_vgpr 50
		.amdhsa_next_free_sgpr 34
		.amdhsa_reserve_vcc 1
		.amdhsa_float_round_mode_32 0
		.amdhsa_float_round_mode_16_64 0
		.amdhsa_float_denorm_mode_32 3
		.amdhsa_float_denorm_mode_16_64 3
		.amdhsa_dx10_clamp 1
		.amdhsa_ieee_mode 1
		.amdhsa_fp16_overflow 0
		.amdhsa_workgroup_processor_mode 1
		.amdhsa_memory_ordered 1
		.amdhsa_forward_progress 0
		.amdhsa_shared_vgpr_count 0
		.amdhsa_exception_fp_ieee_invalid_op 0
		.amdhsa_exception_fp_denorm_src 0
		.amdhsa_exception_fp_ieee_div_zero 0
		.amdhsa_exception_fp_ieee_overflow 0
		.amdhsa_exception_fp_ieee_underflow 0
		.amdhsa_exception_fp_ieee_inexact 0
		.amdhsa_exception_int_div_zero 0
	.end_amdhsa_kernel
	.section	.text._Z16wvSplitK_hf_big_I14__hip_bfloat16Li64ELi2ELi16ELi8ELi2ELi2EEviiPKT_S3_PS1_ii,"axG",@progbits,_Z16wvSplitK_hf_big_I14__hip_bfloat16Li64ELi2ELi16ELi8ELi2ELi2EEviiPKT_S3_PS1_ii,comdat
.Lfunc_end27:
	.size	_Z16wvSplitK_hf_big_I14__hip_bfloat16Li64ELi2ELi16ELi8ELi2ELi2EEviiPKT_S3_PS1_ii, .Lfunc_end27-_Z16wvSplitK_hf_big_I14__hip_bfloat16Li64ELi2ELi16ELi8ELi2ELi2EEviiPKT_S3_PS1_ii
                                        ; -- End function
	.section	.AMDGPU.csdata,"",@progbits
; Kernel info:
; codeLenInByte = 76
; NumSgprs: 36
; NumVgprs: 50
; ScratchSize: 64
; MemoryBound: 0
; FloatMode: 240
; IeeeMode: 1
; LDSByteSize: 0 bytes/workgroup (compile time only)
; SGPRBlocks: 4
; VGPRBlocks: 6
; NumSGPRsForWavesPerEU: 36
; NumVGPRsForWavesPerEU: 50
; Occupancy: 16
; WaveLimiterHint : 1
; COMPUTE_PGM_RSRC2:SCRATCH_EN: 1
; COMPUTE_PGM_RSRC2:USER_SGPR: 15
; COMPUTE_PGM_RSRC2:TRAP_HANDLER: 0
; COMPUTE_PGM_RSRC2:TGID_X_EN: 1
; COMPUTE_PGM_RSRC2:TGID_Y_EN: 0
; COMPUTE_PGM_RSRC2:TGID_Z_EN: 0
; COMPUTE_PGM_RSRC2:TIDIG_COMP_CNT: 0
	.section	.text._Z16wvSplitK_hf_sml_I14__hip_bfloat16Li64ELi4ELi16ELi8ELi1ELi3EEviiPKT_S3_PS1_ii,"axG",@progbits,_Z16wvSplitK_hf_sml_I14__hip_bfloat16Li64ELi4ELi16ELi8ELi1ELi3EEviiPKT_S3_PS1_ii,comdat
	.protected	_Z16wvSplitK_hf_sml_I14__hip_bfloat16Li64ELi4ELi16ELi8ELi1ELi3EEviiPKT_S3_PS1_ii ; -- Begin function _Z16wvSplitK_hf_sml_I14__hip_bfloat16Li64ELi4ELi16ELi8ELi1ELi3EEviiPKT_S3_PS1_ii
	.globl	_Z16wvSplitK_hf_sml_I14__hip_bfloat16Li64ELi4ELi16ELi8ELi1ELi3EEviiPKT_S3_PS1_ii
	.p2align	8
	.type	_Z16wvSplitK_hf_sml_I14__hip_bfloat16Li64ELi4ELi16ELi8ELi1ELi3EEviiPKT_S3_PS1_ii,@function
_Z16wvSplitK_hf_sml_I14__hip_bfloat16Li64ELi4ELi16ELi8ELi1ELi3EEviiPKT_S3_PS1_ii: ; @_Z16wvSplitK_hf_sml_I14__hip_bfloat16Li64ELi4ELi16ELi8ELi1ELi3EEviiPKT_S3_PS1_ii
; %bb.0:
	s_add_u32 s8, s0, 40
	s_addc_u32 s9, s1, 0
	s_getpc_b64 s[0:1]
	s_add_u32 s0, s0, __PRETTY_FUNCTION__._Z16wvSplitK_hf_sml_I14__hip_bfloat16Li64ELi4ELi16ELi8ELi1ELi3EEviiPKT_S3_PS1_ii@rel32@lo+4
	s_addc_u32 s1, s1, __PRETTY_FUNCTION__._Z16wvSplitK_hf_sml_I14__hip_bfloat16Li64ELi4ELi16ELi8ELi1ELi3EEviiPKT_S3_PS1_ii@rel32@hi+12
	v_dual_mov_b32 v0, 0x224 :: v_dual_mov_b32 v1, s0
	v_mov_b32_e32 v2, s1
	s_mov_b32 s32, 0
	s_getpc_b64 s[2:3]
	s_add_u32 s2, s2, __assert_fail@rel32@lo+4
	s_addc_u32 s3, s3, __assert_fail@rel32@hi+12
	s_delay_alu instid0(SALU_CYCLE_1)
	s_swappc_b64 s[30:31], s[2:3]
	.section	.rodata,"a",@progbits
	.p2align	6, 0x0
	.amdhsa_kernel _Z16wvSplitK_hf_sml_I14__hip_bfloat16Li64ELi4ELi16ELi8ELi1ELi3EEviiPKT_S3_PS1_ii
		.amdhsa_group_segment_fixed_size 0
		.amdhsa_private_segment_fixed_size 64
		.amdhsa_kernarg_size 296
		.amdhsa_user_sgpr_count 15
		.amdhsa_user_sgpr_dispatch_ptr 0
		.amdhsa_user_sgpr_queue_ptr 0
		.amdhsa_user_sgpr_kernarg_segment_ptr 1
		.amdhsa_user_sgpr_dispatch_id 0
		.amdhsa_user_sgpr_private_segment_size 0
		.amdhsa_wavefront_size32 1
		.amdhsa_uses_dynamic_stack 0
		.amdhsa_enable_private_segment 1
		.amdhsa_system_sgpr_workgroup_id_x 1
		.amdhsa_system_sgpr_workgroup_id_y 0
		.amdhsa_system_sgpr_workgroup_id_z 0
		.amdhsa_system_sgpr_workgroup_info 0
		.amdhsa_system_vgpr_workitem_id 0
		.amdhsa_next_free_vgpr 50
		.amdhsa_next_free_sgpr 34
		.amdhsa_reserve_vcc 1
		.amdhsa_float_round_mode_32 0
		.amdhsa_float_round_mode_16_64 0
		.amdhsa_float_denorm_mode_32 3
		.amdhsa_float_denorm_mode_16_64 3
		.amdhsa_dx10_clamp 1
		.amdhsa_ieee_mode 1
		.amdhsa_fp16_overflow 0
		.amdhsa_workgroup_processor_mode 1
		.amdhsa_memory_ordered 1
		.amdhsa_forward_progress 0
		.amdhsa_shared_vgpr_count 0
		.amdhsa_exception_fp_ieee_invalid_op 0
		.amdhsa_exception_fp_denorm_src 0
		.amdhsa_exception_fp_ieee_div_zero 0
		.amdhsa_exception_fp_ieee_overflow 0
		.amdhsa_exception_fp_ieee_underflow 0
		.amdhsa_exception_fp_ieee_inexact 0
		.amdhsa_exception_int_div_zero 0
	.end_amdhsa_kernel
	.section	.text._Z16wvSplitK_hf_sml_I14__hip_bfloat16Li64ELi4ELi16ELi8ELi1ELi3EEviiPKT_S3_PS1_ii,"axG",@progbits,_Z16wvSplitK_hf_sml_I14__hip_bfloat16Li64ELi4ELi16ELi8ELi1ELi3EEviiPKT_S3_PS1_ii,comdat
.Lfunc_end28:
	.size	_Z16wvSplitK_hf_sml_I14__hip_bfloat16Li64ELi4ELi16ELi8ELi1ELi3EEviiPKT_S3_PS1_ii, .Lfunc_end28-_Z16wvSplitK_hf_sml_I14__hip_bfloat16Li64ELi4ELi16ELi8ELi1ELi3EEviiPKT_S3_PS1_ii
                                        ; -- End function
	.section	.AMDGPU.csdata,"",@progbits
; Kernel info:
; codeLenInByte = 76
; NumSgprs: 36
; NumVgprs: 50
; ScratchSize: 64
; MemoryBound: 0
; FloatMode: 240
; IeeeMode: 1
; LDSByteSize: 0 bytes/workgroup (compile time only)
; SGPRBlocks: 4
; VGPRBlocks: 6
; NumSGPRsForWavesPerEU: 36
; NumVGPRsForWavesPerEU: 50
; Occupancy: 16
; WaveLimiterHint : 1
; COMPUTE_PGM_RSRC2:SCRATCH_EN: 1
; COMPUTE_PGM_RSRC2:USER_SGPR: 15
; COMPUTE_PGM_RSRC2:TRAP_HANDLER: 0
; COMPUTE_PGM_RSRC2:TGID_X_EN: 1
; COMPUTE_PGM_RSRC2:TGID_Y_EN: 0
; COMPUTE_PGM_RSRC2:TGID_Z_EN: 0
; COMPUTE_PGM_RSRC2:TIDIG_COMP_CNT: 0
	.section	.text._Z12wvSplitK_hf_I14__hip_bfloat16Li64ELi7ELi16ELi8ELi1ELi3EEviiPKT_S3_PS1_ii,"axG",@progbits,_Z12wvSplitK_hf_I14__hip_bfloat16Li64ELi7ELi16ELi8ELi1ELi3EEviiPKT_S3_PS1_ii,comdat
	.protected	_Z12wvSplitK_hf_I14__hip_bfloat16Li64ELi7ELi16ELi8ELi1ELi3EEviiPKT_S3_PS1_ii ; -- Begin function _Z12wvSplitK_hf_I14__hip_bfloat16Li64ELi7ELi16ELi8ELi1ELi3EEviiPKT_S3_PS1_ii
	.globl	_Z12wvSplitK_hf_I14__hip_bfloat16Li64ELi7ELi16ELi8ELi1ELi3EEviiPKT_S3_PS1_ii
	.p2align	8
	.type	_Z12wvSplitK_hf_I14__hip_bfloat16Li64ELi7ELi16ELi8ELi1ELi3EEviiPKT_S3_PS1_ii,@function
_Z12wvSplitK_hf_I14__hip_bfloat16Li64ELi7ELi16ELi8ELi1ELi3EEviiPKT_S3_PS1_ii: ; @_Z12wvSplitK_hf_I14__hip_bfloat16Li64ELi7ELi16ELi8ELi1ELi3EEviiPKT_S3_PS1_ii
; %bb.0:
	s_add_u32 s8, s0, 40
	s_addc_u32 s9, s1, 0
	s_getpc_b64 s[0:1]
	s_add_u32 s0, s0, __PRETTY_FUNCTION__._Z12wvSplitK_hf_I14__hip_bfloat16Li64ELi7ELi16ELi8ELi1ELi3EEviiPKT_S3_PS1_ii@rel32@lo+4
	s_addc_u32 s1, s1, __PRETTY_FUNCTION__._Z12wvSplitK_hf_I14__hip_bfloat16Li64ELi7ELi16ELi8ELi1ELi3EEviiPKT_S3_PS1_ii@rel32@hi+12
	v_dual_mov_b32 v0, 0x351 :: v_dual_mov_b32 v1, s0
	v_mov_b32_e32 v2, s1
	s_mov_b32 s32, 0
	s_getpc_b64 s[2:3]
	s_add_u32 s2, s2, __assert_fail@rel32@lo+4
	s_addc_u32 s3, s3, __assert_fail@rel32@hi+12
	s_delay_alu instid0(SALU_CYCLE_1)
	s_swappc_b64 s[30:31], s[2:3]
	.section	.rodata,"a",@progbits
	.p2align	6, 0x0
	.amdhsa_kernel _Z12wvSplitK_hf_I14__hip_bfloat16Li64ELi7ELi16ELi8ELi1ELi3EEviiPKT_S3_PS1_ii
		.amdhsa_group_segment_fixed_size 0
		.amdhsa_private_segment_fixed_size 64
		.amdhsa_kernarg_size 296
		.amdhsa_user_sgpr_count 15
		.amdhsa_user_sgpr_dispatch_ptr 0
		.amdhsa_user_sgpr_queue_ptr 0
		.amdhsa_user_sgpr_kernarg_segment_ptr 1
		.amdhsa_user_sgpr_dispatch_id 0
		.amdhsa_user_sgpr_private_segment_size 0
		.amdhsa_wavefront_size32 1
		.amdhsa_uses_dynamic_stack 0
		.amdhsa_enable_private_segment 1
		.amdhsa_system_sgpr_workgroup_id_x 1
		.amdhsa_system_sgpr_workgroup_id_y 0
		.amdhsa_system_sgpr_workgroup_id_z 0
		.amdhsa_system_sgpr_workgroup_info 0
		.amdhsa_system_vgpr_workitem_id 0
		.amdhsa_next_free_vgpr 50
		.amdhsa_next_free_sgpr 34
		.amdhsa_reserve_vcc 1
		.amdhsa_float_round_mode_32 0
		.amdhsa_float_round_mode_16_64 0
		.amdhsa_float_denorm_mode_32 3
		.amdhsa_float_denorm_mode_16_64 3
		.amdhsa_dx10_clamp 1
		.amdhsa_ieee_mode 1
		.amdhsa_fp16_overflow 0
		.amdhsa_workgroup_processor_mode 1
		.amdhsa_memory_ordered 1
		.amdhsa_forward_progress 0
		.amdhsa_shared_vgpr_count 0
		.amdhsa_exception_fp_ieee_invalid_op 0
		.amdhsa_exception_fp_denorm_src 0
		.amdhsa_exception_fp_ieee_div_zero 0
		.amdhsa_exception_fp_ieee_overflow 0
		.amdhsa_exception_fp_ieee_underflow 0
		.amdhsa_exception_fp_ieee_inexact 0
		.amdhsa_exception_int_div_zero 0
	.end_amdhsa_kernel
	.section	.text._Z12wvSplitK_hf_I14__hip_bfloat16Li64ELi7ELi16ELi8ELi1ELi3EEviiPKT_S3_PS1_ii,"axG",@progbits,_Z12wvSplitK_hf_I14__hip_bfloat16Li64ELi7ELi16ELi8ELi1ELi3EEviiPKT_S3_PS1_ii,comdat
.Lfunc_end29:
	.size	_Z12wvSplitK_hf_I14__hip_bfloat16Li64ELi7ELi16ELi8ELi1ELi3EEviiPKT_S3_PS1_ii, .Lfunc_end29-_Z12wvSplitK_hf_I14__hip_bfloat16Li64ELi7ELi16ELi8ELi1ELi3EEviiPKT_S3_PS1_ii
                                        ; -- End function
	.section	.AMDGPU.csdata,"",@progbits
; Kernel info:
; codeLenInByte = 76
; NumSgprs: 36
; NumVgprs: 50
; ScratchSize: 64
; MemoryBound: 0
; FloatMode: 240
; IeeeMode: 1
; LDSByteSize: 0 bytes/workgroup (compile time only)
; SGPRBlocks: 4
; VGPRBlocks: 6
; NumSGPRsForWavesPerEU: 36
; NumVGPRsForWavesPerEU: 50
; Occupancy: 16
; WaveLimiterHint : 1
; COMPUTE_PGM_RSRC2:SCRATCH_EN: 1
; COMPUTE_PGM_RSRC2:USER_SGPR: 15
; COMPUTE_PGM_RSRC2:TRAP_HANDLER: 0
; COMPUTE_PGM_RSRC2:TGID_X_EN: 1
; COMPUTE_PGM_RSRC2:TGID_Y_EN: 0
; COMPUTE_PGM_RSRC2:TGID_Z_EN: 0
; COMPUTE_PGM_RSRC2:TIDIG_COMP_CNT: 0
	.section	.text._Z16wvSplitK_hf_big_I14__hip_bfloat16Li64ELi7ELi16ELi8ELi1ELi3EEviiPKT_S3_PS1_ii,"axG",@progbits,_Z16wvSplitK_hf_big_I14__hip_bfloat16Li64ELi7ELi16ELi8ELi1ELi3EEviiPKT_S3_PS1_ii,comdat
	.protected	_Z16wvSplitK_hf_big_I14__hip_bfloat16Li64ELi7ELi16ELi8ELi1ELi3EEviiPKT_S3_PS1_ii ; -- Begin function _Z16wvSplitK_hf_big_I14__hip_bfloat16Li64ELi7ELi16ELi8ELi1ELi3EEviiPKT_S3_PS1_ii
	.globl	_Z16wvSplitK_hf_big_I14__hip_bfloat16Li64ELi7ELi16ELi8ELi1ELi3EEviiPKT_S3_PS1_ii
	.p2align	8
	.type	_Z16wvSplitK_hf_big_I14__hip_bfloat16Li64ELi7ELi16ELi8ELi1ELi3EEviiPKT_S3_PS1_ii,@function
_Z16wvSplitK_hf_big_I14__hip_bfloat16Li64ELi7ELi16ELi8ELi1ELi3EEviiPKT_S3_PS1_ii: ; @_Z16wvSplitK_hf_big_I14__hip_bfloat16Li64ELi7ELi16ELi8ELi1ELi3EEviiPKT_S3_PS1_ii
; %bb.0:
	s_add_u32 s8, s0, 40
	s_addc_u32 s9, s1, 0
	s_getpc_b64 s[0:1]
	s_add_u32 s0, s0, __PRETTY_FUNCTION__._Z16wvSplitK_hf_big_I14__hip_bfloat16Li64ELi7ELi16ELi8ELi1ELi3EEviiPKT_S3_PS1_ii@rel32@lo+4
	s_addc_u32 s1, s1, __PRETTY_FUNCTION__._Z16wvSplitK_hf_big_I14__hip_bfloat16Li64ELi7ELi16ELi8ELi1ELi3EEviiPKT_S3_PS1_ii@rel32@hi+12
	v_dual_mov_b32 v0, 0x4ad :: v_dual_mov_b32 v1, s0
	v_mov_b32_e32 v2, s1
	s_mov_b32 s32, 0
	s_getpc_b64 s[2:3]
	s_add_u32 s2, s2, __assert_fail@rel32@lo+4
	s_addc_u32 s3, s3, __assert_fail@rel32@hi+12
	s_delay_alu instid0(SALU_CYCLE_1)
	s_swappc_b64 s[30:31], s[2:3]
	.section	.rodata,"a",@progbits
	.p2align	6, 0x0
	.amdhsa_kernel _Z16wvSplitK_hf_big_I14__hip_bfloat16Li64ELi7ELi16ELi8ELi1ELi3EEviiPKT_S3_PS1_ii
		.amdhsa_group_segment_fixed_size 0
		.amdhsa_private_segment_fixed_size 64
		.amdhsa_kernarg_size 296
		.amdhsa_user_sgpr_count 15
		.amdhsa_user_sgpr_dispatch_ptr 0
		.amdhsa_user_sgpr_queue_ptr 0
		.amdhsa_user_sgpr_kernarg_segment_ptr 1
		.amdhsa_user_sgpr_dispatch_id 0
		.amdhsa_user_sgpr_private_segment_size 0
		.amdhsa_wavefront_size32 1
		.amdhsa_uses_dynamic_stack 0
		.amdhsa_enable_private_segment 1
		.amdhsa_system_sgpr_workgroup_id_x 1
		.amdhsa_system_sgpr_workgroup_id_y 0
		.amdhsa_system_sgpr_workgroup_id_z 0
		.amdhsa_system_sgpr_workgroup_info 0
		.amdhsa_system_vgpr_workitem_id 0
		.amdhsa_next_free_vgpr 50
		.amdhsa_next_free_sgpr 34
		.amdhsa_reserve_vcc 1
		.amdhsa_float_round_mode_32 0
		.amdhsa_float_round_mode_16_64 0
		.amdhsa_float_denorm_mode_32 3
		.amdhsa_float_denorm_mode_16_64 3
		.amdhsa_dx10_clamp 1
		.amdhsa_ieee_mode 1
		.amdhsa_fp16_overflow 0
		.amdhsa_workgroup_processor_mode 1
		.amdhsa_memory_ordered 1
		.amdhsa_forward_progress 0
		.amdhsa_shared_vgpr_count 0
		.amdhsa_exception_fp_ieee_invalid_op 0
		.amdhsa_exception_fp_denorm_src 0
		.amdhsa_exception_fp_ieee_div_zero 0
		.amdhsa_exception_fp_ieee_overflow 0
		.amdhsa_exception_fp_ieee_underflow 0
		.amdhsa_exception_fp_ieee_inexact 0
		.amdhsa_exception_int_div_zero 0
	.end_amdhsa_kernel
	.section	.text._Z16wvSplitK_hf_big_I14__hip_bfloat16Li64ELi7ELi16ELi8ELi1ELi3EEviiPKT_S3_PS1_ii,"axG",@progbits,_Z16wvSplitK_hf_big_I14__hip_bfloat16Li64ELi7ELi16ELi8ELi1ELi3EEviiPKT_S3_PS1_ii,comdat
.Lfunc_end30:
	.size	_Z16wvSplitK_hf_big_I14__hip_bfloat16Li64ELi7ELi16ELi8ELi1ELi3EEviiPKT_S3_PS1_ii, .Lfunc_end30-_Z16wvSplitK_hf_big_I14__hip_bfloat16Li64ELi7ELi16ELi8ELi1ELi3EEviiPKT_S3_PS1_ii
                                        ; -- End function
	.section	.AMDGPU.csdata,"",@progbits
; Kernel info:
; codeLenInByte = 76
; NumSgprs: 36
; NumVgprs: 50
; ScratchSize: 64
; MemoryBound: 0
; FloatMode: 240
; IeeeMode: 1
; LDSByteSize: 0 bytes/workgroup (compile time only)
; SGPRBlocks: 4
; VGPRBlocks: 6
; NumSGPRsForWavesPerEU: 36
; NumVGPRsForWavesPerEU: 50
; Occupancy: 16
; WaveLimiterHint : 1
; COMPUTE_PGM_RSRC2:SCRATCH_EN: 1
; COMPUTE_PGM_RSRC2:USER_SGPR: 15
; COMPUTE_PGM_RSRC2:TRAP_HANDLER: 0
; COMPUTE_PGM_RSRC2:TGID_X_EN: 1
; COMPUTE_PGM_RSRC2:TGID_Y_EN: 0
; COMPUTE_PGM_RSRC2:TGID_Z_EN: 0
; COMPUTE_PGM_RSRC2:TIDIG_COMP_CNT: 0
	.section	.text._Z16wvSplitK_hf_sml_I14__hip_bfloat16Li64ELi4ELi16ELi8ELi1ELi4EEviiPKT_S3_PS1_ii,"axG",@progbits,_Z16wvSplitK_hf_sml_I14__hip_bfloat16Li64ELi4ELi16ELi8ELi1ELi4EEviiPKT_S3_PS1_ii,comdat
	.protected	_Z16wvSplitK_hf_sml_I14__hip_bfloat16Li64ELi4ELi16ELi8ELi1ELi4EEviiPKT_S3_PS1_ii ; -- Begin function _Z16wvSplitK_hf_sml_I14__hip_bfloat16Li64ELi4ELi16ELi8ELi1ELi4EEviiPKT_S3_PS1_ii
	.globl	_Z16wvSplitK_hf_sml_I14__hip_bfloat16Li64ELi4ELi16ELi8ELi1ELi4EEviiPKT_S3_PS1_ii
	.p2align	8
	.type	_Z16wvSplitK_hf_sml_I14__hip_bfloat16Li64ELi4ELi16ELi8ELi1ELi4EEviiPKT_S3_PS1_ii,@function
_Z16wvSplitK_hf_sml_I14__hip_bfloat16Li64ELi4ELi16ELi8ELi1ELi4EEviiPKT_S3_PS1_ii: ; @_Z16wvSplitK_hf_sml_I14__hip_bfloat16Li64ELi4ELi16ELi8ELi1ELi4EEviiPKT_S3_PS1_ii
; %bb.0:
	s_add_u32 s8, s0, 40
	s_addc_u32 s9, s1, 0
	s_getpc_b64 s[0:1]
	s_add_u32 s0, s0, __PRETTY_FUNCTION__._Z16wvSplitK_hf_sml_I14__hip_bfloat16Li64ELi4ELi16ELi8ELi1ELi4EEviiPKT_S3_PS1_ii@rel32@lo+4
	s_addc_u32 s1, s1, __PRETTY_FUNCTION__._Z16wvSplitK_hf_sml_I14__hip_bfloat16Li64ELi4ELi16ELi8ELi1ELi4EEviiPKT_S3_PS1_ii@rel32@hi+12
	v_dual_mov_b32 v0, 0x224 :: v_dual_mov_b32 v1, s0
	v_mov_b32_e32 v2, s1
	s_mov_b32 s32, 0
	s_getpc_b64 s[2:3]
	s_add_u32 s2, s2, __assert_fail@rel32@lo+4
	s_addc_u32 s3, s3, __assert_fail@rel32@hi+12
	s_delay_alu instid0(SALU_CYCLE_1)
	s_swappc_b64 s[30:31], s[2:3]
	.section	.rodata,"a",@progbits
	.p2align	6, 0x0
	.amdhsa_kernel _Z16wvSplitK_hf_sml_I14__hip_bfloat16Li64ELi4ELi16ELi8ELi1ELi4EEviiPKT_S3_PS1_ii
		.amdhsa_group_segment_fixed_size 0
		.amdhsa_private_segment_fixed_size 64
		.amdhsa_kernarg_size 296
		.amdhsa_user_sgpr_count 15
		.amdhsa_user_sgpr_dispatch_ptr 0
		.amdhsa_user_sgpr_queue_ptr 0
		.amdhsa_user_sgpr_kernarg_segment_ptr 1
		.amdhsa_user_sgpr_dispatch_id 0
		.amdhsa_user_sgpr_private_segment_size 0
		.amdhsa_wavefront_size32 1
		.amdhsa_uses_dynamic_stack 0
		.amdhsa_enable_private_segment 1
		.amdhsa_system_sgpr_workgroup_id_x 1
		.amdhsa_system_sgpr_workgroup_id_y 0
		.amdhsa_system_sgpr_workgroup_id_z 0
		.amdhsa_system_sgpr_workgroup_info 0
		.amdhsa_system_vgpr_workitem_id 0
		.amdhsa_next_free_vgpr 50
		.amdhsa_next_free_sgpr 34
		.amdhsa_reserve_vcc 1
		.amdhsa_float_round_mode_32 0
		.amdhsa_float_round_mode_16_64 0
		.amdhsa_float_denorm_mode_32 3
		.amdhsa_float_denorm_mode_16_64 3
		.amdhsa_dx10_clamp 1
		.amdhsa_ieee_mode 1
		.amdhsa_fp16_overflow 0
		.amdhsa_workgroup_processor_mode 1
		.amdhsa_memory_ordered 1
		.amdhsa_forward_progress 0
		.amdhsa_shared_vgpr_count 0
		.amdhsa_exception_fp_ieee_invalid_op 0
		.amdhsa_exception_fp_denorm_src 0
		.amdhsa_exception_fp_ieee_div_zero 0
		.amdhsa_exception_fp_ieee_overflow 0
		.amdhsa_exception_fp_ieee_underflow 0
		.amdhsa_exception_fp_ieee_inexact 0
		.amdhsa_exception_int_div_zero 0
	.end_amdhsa_kernel
	.section	.text._Z16wvSplitK_hf_sml_I14__hip_bfloat16Li64ELi4ELi16ELi8ELi1ELi4EEviiPKT_S3_PS1_ii,"axG",@progbits,_Z16wvSplitK_hf_sml_I14__hip_bfloat16Li64ELi4ELi16ELi8ELi1ELi4EEviiPKT_S3_PS1_ii,comdat
.Lfunc_end31:
	.size	_Z16wvSplitK_hf_sml_I14__hip_bfloat16Li64ELi4ELi16ELi8ELi1ELi4EEviiPKT_S3_PS1_ii, .Lfunc_end31-_Z16wvSplitK_hf_sml_I14__hip_bfloat16Li64ELi4ELi16ELi8ELi1ELi4EEviiPKT_S3_PS1_ii
                                        ; -- End function
	.section	.AMDGPU.csdata,"",@progbits
; Kernel info:
; codeLenInByte = 76
; NumSgprs: 36
; NumVgprs: 50
; ScratchSize: 64
; MemoryBound: 0
; FloatMode: 240
; IeeeMode: 1
; LDSByteSize: 0 bytes/workgroup (compile time only)
; SGPRBlocks: 4
; VGPRBlocks: 6
; NumSGPRsForWavesPerEU: 36
; NumVGPRsForWavesPerEU: 50
; Occupancy: 16
; WaveLimiterHint : 1
; COMPUTE_PGM_RSRC2:SCRATCH_EN: 1
; COMPUTE_PGM_RSRC2:USER_SGPR: 15
; COMPUTE_PGM_RSRC2:TRAP_HANDLER: 0
; COMPUTE_PGM_RSRC2:TGID_X_EN: 1
; COMPUTE_PGM_RSRC2:TGID_Y_EN: 0
; COMPUTE_PGM_RSRC2:TGID_Z_EN: 0
; COMPUTE_PGM_RSRC2:TIDIG_COMP_CNT: 0
	.section	.text._Z12wvSplitK_hf_I14__hip_bfloat16Li64ELi7ELi16ELi8ELi1ELi4EEviiPKT_S3_PS1_ii,"axG",@progbits,_Z12wvSplitK_hf_I14__hip_bfloat16Li64ELi7ELi16ELi8ELi1ELi4EEviiPKT_S3_PS1_ii,comdat
	.protected	_Z12wvSplitK_hf_I14__hip_bfloat16Li64ELi7ELi16ELi8ELi1ELi4EEviiPKT_S3_PS1_ii ; -- Begin function _Z12wvSplitK_hf_I14__hip_bfloat16Li64ELi7ELi16ELi8ELi1ELi4EEviiPKT_S3_PS1_ii
	.globl	_Z12wvSplitK_hf_I14__hip_bfloat16Li64ELi7ELi16ELi8ELi1ELi4EEviiPKT_S3_PS1_ii
	.p2align	8
	.type	_Z12wvSplitK_hf_I14__hip_bfloat16Li64ELi7ELi16ELi8ELi1ELi4EEviiPKT_S3_PS1_ii,@function
_Z12wvSplitK_hf_I14__hip_bfloat16Li64ELi7ELi16ELi8ELi1ELi4EEviiPKT_S3_PS1_ii: ; @_Z12wvSplitK_hf_I14__hip_bfloat16Li64ELi7ELi16ELi8ELi1ELi4EEviiPKT_S3_PS1_ii
; %bb.0:
	s_add_u32 s8, s0, 40
	s_addc_u32 s9, s1, 0
	s_getpc_b64 s[0:1]
	s_add_u32 s0, s0, __PRETTY_FUNCTION__._Z12wvSplitK_hf_I14__hip_bfloat16Li64ELi7ELi16ELi8ELi1ELi4EEviiPKT_S3_PS1_ii@rel32@lo+4
	s_addc_u32 s1, s1, __PRETTY_FUNCTION__._Z12wvSplitK_hf_I14__hip_bfloat16Li64ELi7ELi16ELi8ELi1ELi4EEviiPKT_S3_PS1_ii@rel32@hi+12
	v_dual_mov_b32 v0, 0x351 :: v_dual_mov_b32 v1, s0
	v_mov_b32_e32 v2, s1
	s_mov_b32 s32, 0
	s_getpc_b64 s[2:3]
	s_add_u32 s2, s2, __assert_fail@rel32@lo+4
	s_addc_u32 s3, s3, __assert_fail@rel32@hi+12
	s_delay_alu instid0(SALU_CYCLE_1)
	s_swappc_b64 s[30:31], s[2:3]
	.section	.rodata,"a",@progbits
	.p2align	6, 0x0
	.amdhsa_kernel _Z12wvSplitK_hf_I14__hip_bfloat16Li64ELi7ELi16ELi8ELi1ELi4EEviiPKT_S3_PS1_ii
		.amdhsa_group_segment_fixed_size 0
		.amdhsa_private_segment_fixed_size 64
		.amdhsa_kernarg_size 296
		.amdhsa_user_sgpr_count 15
		.amdhsa_user_sgpr_dispatch_ptr 0
		.amdhsa_user_sgpr_queue_ptr 0
		.amdhsa_user_sgpr_kernarg_segment_ptr 1
		.amdhsa_user_sgpr_dispatch_id 0
		.amdhsa_user_sgpr_private_segment_size 0
		.amdhsa_wavefront_size32 1
		.amdhsa_uses_dynamic_stack 0
		.amdhsa_enable_private_segment 1
		.amdhsa_system_sgpr_workgroup_id_x 1
		.amdhsa_system_sgpr_workgroup_id_y 0
		.amdhsa_system_sgpr_workgroup_id_z 0
		.amdhsa_system_sgpr_workgroup_info 0
		.amdhsa_system_vgpr_workitem_id 0
		.amdhsa_next_free_vgpr 50
		.amdhsa_next_free_sgpr 34
		.amdhsa_reserve_vcc 1
		.amdhsa_float_round_mode_32 0
		.amdhsa_float_round_mode_16_64 0
		.amdhsa_float_denorm_mode_32 3
		.amdhsa_float_denorm_mode_16_64 3
		.amdhsa_dx10_clamp 1
		.amdhsa_ieee_mode 1
		.amdhsa_fp16_overflow 0
		.amdhsa_workgroup_processor_mode 1
		.amdhsa_memory_ordered 1
		.amdhsa_forward_progress 0
		.amdhsa_shared_vgpr_count 0
		.amdhsa_exception_fp_ieee_invalid_op 0
		.amdhsa_exception_fp_denorm_src 0
		.amdhsa_exception_fp_ieee_div_zero 0
		.amdhsa_exception_fp_ieee_overflow 0
		.amdhsa_exception_fp_ieee_underflow 0
		.amdhsa_exception_fp_ieee_inexact 0
		.amdhsa_exception_int_div_zero 0
	.end_amdhsa_kernel
	.section	.text._Z12wvSplitK_hf_I14__hip_bfloat16Li64ELi7ELi16ELi8ELi1ELi4EEviiPKT_S3_PS1_ii,"axG",@progbits,_Z12wvSplitK_hf_I14__hip_bfloat16Li64ELi7ELi16ELi8ELi1ELi4EEviiPKT_S3_PS1_ii,comdat
.Lfunc_end32:
	.size	_Z12wvSplitK_hf_I14__hip_bfloat16Li64ELi7ELi16ELi8ELi1ELi4EEviiPKT_S3_PS1_ii, .Lfunc_end32-_Z12wvSplitK_hf_I14__hip_bfloat16Li64ELi7ELi16ELi8ELi1ELi4EEviiPKT_S3_PS1_ii
                                        ; -- End function
	.section	.AMDGPU.csdata,"",@progbits
; Kernel info:
; codeLenInByte = 76
; NumSgprs: 36
; NumVgprs: 50
; ScratchSize: 64
; MemoryBound: 0
; FloatMode: 240
; IeeeMode: 1
; LDSByteSize: 0 bytes/workgroup (compile time only)
; SGPRBlocks: 4
; VGPRBlocks: 6
; NumSGPRsForWavesPerEU: 36
; NumVGPRsForWavesPerEU: 50
; Occupancy: 16
; WaveLimiterHint : 1
; COMPUTE_PGM_RSRC2:SCRATCH_EN: 1
; COMPUTE_PGM_RSRC2:USER_SGPR: 15
; COMPUTE_PGM_RSRC2:TRAP_HANDLER: 0
; COMPUTE_PGM_RSRC2:TGID_X_EN: 1
; COMPUTE_PGM_RSRC2:TGID_Y_EN: 0
; COMPUTE_PGM_RSRC2:TGID_Z_EN: 0
; COMPUTE_PGM_RSRC2:TIDIG_COMP_CNT: 0
	.section	.text._Z16wvSplitK_hf_big_I14__hip_bfloat16Li64ELi7ELi16ELi8ELi1ELi4EEviiPKT_S3_PS1_ii,"axG",@progbits,_Z16wvSplitK_hf_big_I14__hip_bfloat16Li64ELi7ELi16ELi8ELi1ELi4EEviiPKT_S3_PS1_ii,comdat
	.protected	_Z16wvSplitK_hf_big_I14__hip_bfloat16Li64ELi7ELi16ELi8ELi1ELi4EEviiPKT_S3_PS1_ii ; -- Begin function _Z16wvSplitK_hf_big_I14__hip_bfloat16Li64ELi7ELi16ELi8ELi1ELi4EEviiPKT_S3_PS1_ii
	.globl	_Z16wvSplitK_hf_big_I14__hip_bfloat16Li64ELi7ELi16ELi8ELi1ELi4EEviiPKT_S3_PS1_ii
	.p2align	8
	.type	_Z16wvSplitK_hf_big_I14__hip_bfloat16Li64ELi7ELi16ELi8ELi1ELi4EEviiPKT_S3_PS1_ii,@function
_Z16wvSplitK_hf_big_I14__hip_bfloat16Li64ELi7ELi16ELi8ELi1ELi4EEviiPKT_S3_PS1_ii: ; @_Z16wvSplitK_hf_big_I14__hip_bfloat16Li64ELi7ELi16ELi8ELi1ELi4EEviiPKT_S3_PS1_ii
; %bb.0:
	s_add_u32 s8, s0, 40
	s_addc_u32 s9, s1, 0
	s_getpc_b64 s[0:1]
	s_add_u32 s0, s0, __PRETTY_FUNCTION__._Z16wvSplitK_hf_big_I14__hip_bfloat16Li64ELi7ELi16ELi8ELi1ELi4EEviiPKT_S3_PS1_ii@rel32@lo+4
	s_addc_u32 s1, s1, __PRETTY_FUNCTION__._Z16wvSplitK_hf_big_I14__hip_bfloat16Li64ELi7ELi16ELi8ELi1ELi4EEviiPKT_S3_PS1_ii@rel32@hi+12
	v_dual_mov_b32 v0, 0x4ad :: v_dual_mov_b32 v1, s0
	v_mov_b32_e32 v2, s1
	s_mov_b32 s32, 0
	s_getpc_b64 s[2:3]
	s_add_u32 s2, s2, __assert_fail@rel32@lo+4
	s_addc_u32 s3, s3, __assert_fail@rel32@hi+12
	s_delay_alu instid0(SALU_CYCLE_1)
	s_swappc_b64 s[30:31], s[2:3]
	.section	.rodata,"a",@progbits
	.p2align	6, 0x0
	.amdhsa_kernel _Z16wvSplitK_hf_big_I14__hip_bfloat16Li64ELi7ELi16ELi8ELi1ELi4EEviiPKT_S3_PS1_ii
		.amdhsa_group_segment_fixed_size 0
		.amdhsa_private_segment_fixed_size 64
		.amdhsa_kernarg_size 296
		.amdhsa_user_sgpr_count 15
		.amdhsa_user_sgpr_dispatch_ptr 0
		.amdhsa_user_sgpr_queue_ptr 0
		.amdhsa_user_sgpr_kernarg_segment_ptr 1
		.amdhsa_user_sgpr_dispatch_id 0
		.amdhsa_user_sgpr_private_segment_size 0
		.amdhsa_wavefront_size32 1
		.amdhsa_uses_dynamic_stack 0
		.amdhsa_enable_private_segment 1
		.amdhsa_system_sgpr_workgroup_id_x 1
		.amdhsa_system_sgpr_workgroup_id_y 0
		.amdhsa_system_sgpr_workgroup_id_z 0
		.amdhsa_system_sgpr_workgroup_info 0
		.amdhsa_system_vgpr_workitem_id 0
		.amdhsa_next_free_vgpr 50
		.amdhsa_next_free_sgpr 34
		.amdhsa_reserve_vcc 1
		.amdhsa_float_round_mode_32 0
		.amdhsa_float_round_mode_16_64 0
		.amdhsa_float_denorm_mode_32 3
		.amdhsa_float_denorm_mode_16_64 3
		.amdhsa_dx10_clamp 1
		.amdhsa_ieee_mode 1
		.amdhsa_fp16_overflow 0
		.amdhsa_workgroup_processor_mode 1
		.amdhsa_memory_ordered 1
		.amdhsa_forward_progress 0
		.amdhsa_shared_vgpr_count 0
		.amdhsa_exception_fp_ieee_invalid_op 0
		.amdhsa_exception_fp_denorm_src 0
		.amdhsa_exception_fp_ieee_div_zero 0
		.amdhsa_exception_fp_ieee_overflow 0
		.amdhsa_exception_fp_ieee_underflow 0
		.amdhsa_exception_fp_ieee_inexact 0
		.amdhsa_exception_int_div_zero 0
	.end_amdhsa_kernel
	.section	.text._Z16wvSplitK_hf_big_I14__hip_bfloat16Li64ELi7ELi16ELi8ELi1ELi4EEviiPKT_S3_PS1_ii,"axG",@progbits,_Z16wvSplitK_hf_big_I14__hip_bfloat16Li64ELi7ELi16ELi8ELi1ELi4EEviiPKT_S3_PS1_ii,comdat
.Lfunc_end33:
	.size	_Z16wvSplitK_hf_big_I14__hip_bfloat16Li64ELi7ELi16ELi8ELi1ELi4EEviiPKT_S3_PS1_ii, .Lfunc_end33-_Z16wvSplitK_hf_big_I14__hip_bfloat16Li64ELi7ELi16ELi8ELi1ELi4EEviiPKT_S3_PS1_ii
                                        ; -- End function
	.section	.AMDGPU.csdata,"",@progbits
; Kernel info:
; codeLenInByte = 76
; NumSgprs: 36
; NumVgprs: 50
; ScratchSize: 64
; MemoryBound: 0
; FloatMode: 240
; IeeeMode: 1
; LDSByteSize: 0 bytes/workgroup (compile time only)
; SGPRBlocks: 4
; VGPRBlocks: 6
; NumSGPRsForWavesPerEU: 36
; NumVGPRsForWavesPerEU: 50
; Occupancy: 16
; WaveLimiterHint : 1
; COMPUTE_PGM_RSRC2:SCRATCH_EN: 1
; COMPUTE_PGM_RSRC2:USER_SGPR: 15
; COMPUTE_PGM_RSRC2:TRAP_HANDLER: 0
; COMPUTE_PGM_RSRC2:TGID_X_EN: 1
; COMPUTE_PGM_RSRC2:TGID_Y_EN: 0
; COMPUTE_PGM_RSRC2:TGID_Z_EN: 0
; COMPUTE_PGM_RSRC2:TIDIG_COMP_CNT: 0
	.section	.text._Z17wvSplitKQ_hf_sml_I6__halfN3c1013Float8_e4m3fnELi64ELi2ELi16ELi16ELi2ELi1EEviiiPKT0_S5_PT_PKfS9_ii,"axG",@progbits,_Z17wvSplitKQ_hf_sml_I6__halfN3c1013Float8_e4m3fnELi64ELi2ELi16ELi16ELi2ELi1EEviiiPKT0_S5_PT_PKfS9_ii,comdat
	.protected	_Z17wvSplitKQ_hf_sml_I6__halfN3c1013Float8_e4m3fnELi64ELi2ELi16ELi16ELi2ELi1EEviiiPKT0_S5_PT_PKfS9_ii ; -- Begin function _Z17wvSplitKQ_hf_sml_I6__halfN3c1013Float8_e4m3fnELi64ELi2ELi16ELi16ELi2ELi1EEviiiPKT0_S5_PT_PKfS9_ii
	.globl	_Z17wvSplitKQ_hf_sml_I6__halfN3c1013Float8_e4m3fnELi64ELi2ELi16ELi16ELi2ELi1EEviiiPKT0_S5_PT_PKfS9_ii
	.p2align	8
	.type	_Z17wvSplitKQ_hf_sml_I6__halfN3c1013Float8_e4m3fnELi64ELi2ELi16ELi16ELi2ELi1EEviiiPKT0_S5_PT_PKfS9_ii,@function
_Z17wvSplitKQ_hf_sml_I6__halfN3c1013Float8_e4m3fnELi64ELi2ELi16ELi16ELi2ELi1EEviiiPKT0_S5_PT_PKfS9_ii: ; @_Z17wvSplitKQ_hf_sml_I6__halfN3c1013Float8_e4m3fnELi64ELi2ELi16ELi16ELi2ELi1EEviiiPKT0_S5_PT_PKfS9_ii
; %bb.0:
	s_add_u32 s8, s0, 64
	s_addc_u32 s9, s1, 0
	s_getpc_b64 s[0:1]
	s_add_u32 s0, s0, __PRETTY_FUNCTION__._Z17wvSplitKQ_hf_sml_I6__halfN3c1013Float8_e4m3fnELi64ELi2ELi16ELi16ELi2ELi1EEviiiPKT0_S5_PT_PKfS9_ii@rel32@lo+4
	s_addc_u32 s1, s1, __PRETTY_FUNCTION__._Z17wvSplitKQ_hf_sml_I6__halfN3c1013Float8_e4m3fnELi64ELi2ELi16ELi16ELi2ELi1EEviiiPKT0_S5_PT_PKfS9_ii@rel32@hi+12
	v_dual_mov_b32 v0, 0x5c1 :: v_dual_mov_b32 v1, s0
	v_mov_b32_e32 v2, s1
	s_mov_b32 s32, 0
	s_getpc_b64 s[2:3]
	s_add_u32 s2, s2, __assert_fail@rel32@lo+4
	s_addc_u32 s3, s3, __assert_fail@rel32@hi+12
	s_delay_alu instid0(SALU_CYCLE_1)
	s_swappc_b64 s[30:31], s[2:3]
	.section	.rodata,"a",@progbits
	.p2align	6, 0x0
	.amdhsa_kernel _Z17wvSplitKQ_hf_sml_I6__halfN3c1013Float8_e4m3fnELi64ELi2ELi16ELi16ELi2ELi1EEviiiPKT0_S5_PT_PKfS9_ii
		.amdhsa_group_segment_fixed_size 0
		.amdhsa_private_segment_fixed_size 64
		.amdhsa_kernarg_size 320
		.amdhsa_user_sgpr_count 15
		.amdhsa_user_sgpr_dispatch_ptr 0
		.amdhsa_user_sgpr_queue_ptr 0
		.amdhsa_user_sgpr_kernarg_segment_ptr 1
		.amdhsa_user_sgpr_dispatch_id 0
		.amdhsa_user_sgpr_private_segment_size 0
		.amdhsa_wavefront_size32 1
		.amdhsa_uses_dynamic_stack 0
		.amdhsa_enable_private_segment 1
		.amdhsa_system_sgpr_workgroup_id_x 1
		.amdhsa_system_sgpr_workgroup_id_y 0
		.amdhsa_system_sgpr_workgroup_id_z 0
		.amdhsa_system_sgpr_workgroup_info 0
		.amdhsa_system_vgpr_workitem_id 0
		.amdhsa_next_free_vgpr 50
		.amdhsa_next_free_sgpr 34
		.amdhsa_reserve_vcc 1
		.amdhsa_float_round_mode_32 0
		.amdhsa_float_round_mode_16_64 0
		.amdhsa_float_denorm_mode_32 3
		.amdhsa_float_denorm_mode_16_64 3
		.amdhsa_dx10_clamp 1
		.amdhsa_ieee_mode 1
		.amdhsa_fp16_overflow 0
		.amdhsa_workgroup_processor_mode 1
		.amdhsa_memory_ordered 1
		.amdhsa_forward_progress 0
		.amdhsa_shared_vgpr_count 0
		.amdhsa_exception_fp_ieee_invalid_op 0
		.amdhsa_exception_fp_denorm_src 0
		.amdhsa_exception_fp_ieee_div_zero 0
		.amdhsa_exception_fp_ieee_overflow 0
		.amdhsa_exception_fp_ieee_underflow 0
		.amdhsa_exception_fp_ieee_inexact 0
		.amdhsa_exception_int_div_zero 0
	.end_amdhsa_kernel
	.section	.text._Z17wvSplitKQ_hf_sml_I6__halfN3c1013Float8_e4m3fnELi64ELi2ELi16ELi16ELi2ELi1EEviiiPKT0_S5_PT_PKfS9_ii,"axG",@progbits,_Z17wvSplitKQ_hf_sml_I6__halfN3c1013Float8_e4m3fnELi64ELi2ELi16ELi16ELi2ELi1EEviiiPKT0_S5_PT_PKfS9_ii,comdat
.Lfunc_end34:
	.size	_Z17wvSplitKQ_hf_sml_I6__halfN3c1013Float8_e4m3fnELi64ELi2ELi16ELi16ELi2ELi1EEviiiPKT0_S5_PT_PKfS9_ii, .Lfunc_end34-_Z17wvSplitKQ_hf_sml_I6__halfN3c1013Float8_e4m3fnELi64ELi2ELi16ELi16ELi2ELi1EEviiiPKT0_S5_PT_PKfS9_ii
                                        ; -- End function
	.section	.AMDGPU.csdata,"",@progbits
; Kernel info:
; codeLenInByte = 76
; NumSgprs: 36
; NumVgprs: 50
; ScratchSize: 64
; MemoryBound: 0
; FloatMode: 240
; IeeeMode: 1
; LDSByteSize: 0 bytes/workgroup (compile time only)
; SGPRBlocks: 4
; VGPRBlocks: 6
; NumSGPRsForWavesPerEU: 36
; NumVGPRsForWavesPerEU: 50
; Occupancy: 16
; WaveLimiterHint : 1
; COMPUTE_PGM_RSRC2:SCRATCH_EN: 1
; COMPUTE_PGM_RSRC2:USER_SGPR: 15
; COMPUTE_PGM_RSRC2:TRAP_HANDLER: 0
; COMPUTE_PGM_RSRC2:TGID_X_EN: 1
; COMPUTE_PGM_RSRC2:TGID_Y_EN: 0
; COMPUTE_PGM_RSRC2:TGID_Z_EN: 0
; COMPUTE_PGM_RSRC2:TIDIG_COMP_CNT: 0
	.section	.text._Z13wvSplitKQ_hf_I6__halfN3c1013Float8_e4m3fnELi64ELi2ELi16ELi16ELi2ELi1EEviiiPKT0_S5_PT_PKfS9_ii,"axG",@progbits,_Z13wvSplitKQ_hf_I6__halfN3c1013Float8_e4m3fnELi64ELi2ELi16ELi16ELi2ELi1EEviiiPKT0_S5_PT_PKfS9_ii,comdat
	.protected	_Z13wvSplitKQ_hf_I6__halfN3c1013Float8_e4m3fnELi64ELi2ELi16ELi16ELi2ELi1EEviiiPKT0_S5_PT_PKfS9_ii ; -- Begin function _Z13wvSplitKQ_hf_I6__halfN3c1013Float8_e4m3fnELi64ELi2ELi16ELi16ELi2ELi1EEviiiPKT0_S5_PT_PKfS9_ii
	.globl	_Z13wvSplitKQ_hf_I6__halfN3c1013Float8_e4m3fnELi64ELi2ELi16ELi16ELi2ELi1EEviiiPKT0_S5_PT_PKfS9_ii
	.p2align	8
	.type	_Z13wvSplitKQ_hf_I6__halfN3c1013Float8_e4m3fnELi64ELi2ELi16ELi16ELi2ELi1EEviiiPKT0_S5_PT_PKfS9_ii,@function
_Z13wvSplitKQ_hf_I6__halfN3c1013Float8_e4m3fnELi64ELi2ELi16ELi16ELi2ELi1EEviiiPKT0_S5_PT_PKfS9_ii: ; @_Z13wvSplitKQ_hf_I6__halfN3c1013Float8_e4m3fnELi64ELi2ELi16ELi16ELi2ELi1EEviiiPKT0_S5_PT_PKfS9_ii
; %bb.0:
	s_add_u32 s8, s0, 64
	s_addc_u32 s9, s1, 0
	s_getpc_b64 s[0:1]
	s_add_u32 s0, s0, __PRETTY_FUNCTION__._Z13wvSplitKQ_hf_I6__halfN3c1013Float8_e4m3fnELi64ELi2ELi16ELi16ELi2ELi1EEviiiPKT0_S5_PT_PKfS9_ii@rel32@lo+4
	s_addc_u32 s1, s1, __PRETTY_FUNCTION__._Z13wvSplitKQ_hf_I6__halfN3c1013Float8_e4m3fnELi64ELi2ELi16ELi16ELi2ELi1EEviiiPKT0_S5_PT_PKfS9_ii@rel32@hi+12
	v_dual_mov_b32 v0, 0x66e :: v_dual_mov_b32 v1, s0
	v_mov_b32_e32 v2, s1
	s_mov_b32 s32, 0
	s_getpc_b64 s[2:3]
	s_add_u32 s2, s2, __assert_fail@rel32@lo+4
	s_addc_u32 s3, s3, __assert_fail@rel32@hi+12
	s_delay_alu instid0(SALU_CYCLE_1)
	s_swappc_b64 s[30:31], s[2:3]
	.section	.rodata,"a",@progbits
	.p2align	6, 0x0
	.amdhsa_kernel _Z13wvSplitKQ_hf_I6__halfN3c1013Float8_e4m3fnELi64ELi2ELi16ELi16ELi2ELi1EEviiiPKT0_S5_PT_PKfS9_ii
		.amdhsa_group_segment_fixed_size 0
		.amdhsa_private_segment_fixed_size 64
		.amdhsa_kernarg_size 320
		.amdhsa_user_sgpr_count 15
		.amdhsa_user_sgpr_dispatch_ptr 0
		.amdhsa_user_sgpr_queue_ptr 0
		.amdhsa_user_sgpr_kernarg_segment_ptr 1
		.amdhsa_user_sgpr_dispatch_id 0
		.amdhsa_user_sgpr_private_segment_size 0
		.amdhsa_wavefront_size32 1
		.amdhsa_uses_dynamic_stack 0
		.amdhsa_enable_private_segment 1
		.amdhsa_system_sgpr_workgroup_id_x 1
		.amdhsa_system_sgpr_workgroup_id_y 0
		.amdhsa_system_sgpr_workgroup_id_z 0
		.amdhsa_system_sgpr_workgroup_info 0
		.amdhsa_system_vgpr_workitem_id 0
		.amdhsa_next_free_vgpr 50
		.amdhsa_next_free_sgpr 34
		.amdhsa_reserve_vcc 1
		.amdhsa_float_round_mode_32 0
		.amdhsa_float_round_mode_16_64 0
		.amdhsa_float_denorm_mode_32 3
		.amdhsa_float_denorm_mode_16_64 3
		.amdhsa_dx10_clamp 1
		.amdhsa_ieee_mode 1
		.amdhsa_fp16_overflow 0
		.amdhsa_workgroup_processor_mode 1
		.amdhsa_memory_ordered 1
		.amdhsa_forward_progress 0
		.amdhsa_shared_vgpr_count 0
		.amdhsa_exception_fp_ieee_invalid_op 0
		.amdhsa_exception_fp_denorm_src 0
		.amdhsa_exception_fp_ieee_div_zero 0
		.amdhsa_exception_fp_ieee_overflow 0
		.amdhsa_exception_fp_ieee_underflow 0
		.amdhsa_exception_fp_ieee_inexact 0
		.amdhsa_exception_int_div_zero 0
	.end_amdhsa_kernel
	.section	.text._Z13wvSplitKQ_hf_I6__halfN3c1013Float8_e4m3fnELi64ELi2ELi16ELi16ELi2ELi1EEviiiPKT0_S5_PT_PKfS9_ii,"axG",@progbits,_Z13wvSplitKQ_hf_I6__halfN3c1013Float8_e4m3fnELi64ELi2ELi16ELi16ELi2ELi1EEviiiPKT0_S5_PT_PKfS9_ii,comdat
.Lfunc_end35:
	.size	_Z13wvSplitKQ_hf_I6__halfN3c1013Float8_e4m3fnELi64ELi2ELi16ELi16ELi2ELi1EEviiiPKT0_S5_PT_PKfS9_ii, .Lfunc_end35-_Z13wvSplitKQ_hf_I6__halfN3c1013Float8_e4m3fnELi64ELi2ELi16ELi16ELi2ELi1EEviiiPKT0_S5_PT_PKfS9_ii
                                        ; -- End function
	.section	.AMDGPU.csdata,"",@progbits
; Kernel info:
; codeLenInByte = 76
; NumSgprs: 36
; NumVgprs: 50
; ScratchSize: 64
; MemoryBound: 0
; FloatMode: 240
; IeeeMode: 1
; LDSByteSize: 0 bytes/workgroup (compile time only)
; SGPRBlocks: 4
; VGPRBlocks: 6
; NumSGPRsForWavesPerEU: 36
; NumVGPRsForWavesPerEU: 50
; Occupancy: 16
; WaveLimiterHint : 1
; COMPUTE_PGM_RSRC2:SCRATCH_EN: 1
; COMPUTE_PGM_RSRC2:USER_SGPR: 15
; COMPUTE_PGM_RSRC2:TRAP_HANDLER: 0
; COMPUTE_PGM_RSRC2:TGID_X_EN: 1
; COMPUTE_PGM_RSRC2:TGID_Y_EN: 0
; COMPUTE_PGM_RSRC2:TGID_Z_EN: 0
; COMPUTE_PGM_RSRC2:TIDIG_COMP_CNT: 0
	.section	.text._Z17wvSplitKQ_hf_sml_I6__halfN3c1013Float8_e4m3fnELi64ELi2ELi16ELi16ELi2ELi2EEviiiPKT0_S5_PT_PKfS9_ii,"axG",@progbits,_Z17wvSplitKQ_hf_sml_I6__halfN3c1013Float8_e4m3fnELi64ELi2ELi16ELi16ELi2ELi2EEviiiPKT0_S5_PT_PKfS9_ii,comdat
	.protected	_Z17wvSplitKQ_hf_sml_I6__halfN3c1013Float8_e4m3fnELi64ELi2ELi16ELi16ELi2ELi2EEviiiPKT0_S5_PT_PKfS9_ii ; -- Begin function _Z17wvSplitKQ_hf_sml_I6__halfN3c1013Float8_e4m3fnELi64ELi2ELi16ELi16ELi2ELi2EEviiiPKT0_S5_PT_PKfS9_ii
	.globl	_Z17wvSplitKQ_hf_sml_I6__halfN3c1013Float8_e4m3fnELi64ELi2ELi16ELi16ELi2ELi2EEviiiPKT0_S5_PT_PKfS9_ii
	.p2align	8
	.type	_Z17wvSplitKQ_hf_sml_I6__halfN3c1013Float8_e4m3fnELi64ELi2ELi16ELi16ELi2ELi2EEviiiPKT0_S5_PT_PKfS9_ii,@function
_Z17wvSplitKQ_hf_sml_I6__halfN3c1013Float8_e4m3fnELi64ELi2ELi16ELi16ELi2ELi2EEviiiPKT0_S5_PT_PKfS9_ii: ; @_Z17wvSplitKQ_hf_sml_I6__halfN3c1013Float8_e4m3fnELi64ELi2ELi16ELi16ELi2ELi2EEviiiPKT0_S5_PT_PKfS9_ii
; %bb.0:
	s_add_u32 s8, s0, 64
	s_addc_u32 s9, s1, 0
	s_getpc_b64 s[0:1]
	s_add_u32 s0, s0, __PRETTY_FUNCTION__._Z17wvSplitKQ_hf_sml_I6__halfN3c1013Float8_e4m3fnELi64ELi2ELi16ELi16ELi2ELi2EEviiiPKT0_S5_PT_PKfS9_ii@rel32@lo+4
	s_addc_u32 s1, s1, __PRETTY_FUNCTION__._Z17wvSplitKQ_hf_sml_I6__halfN3c1013Float8_e4m3fnELi64ELi2ELi16ELi16ELi2ELi2EEviiiPKT0_S5_PT_PKfS9_ii@rel32@hi+12
	v_dual_mov_b32 v0, 0x5c1 :: v_dual_mov_b32 v1, s0
	v_mov_b32_e32 v2, s1
	s_mov_b32 s32, 0
	s_getpc_b64 s[2:3]
	s_add_u32 s2, s2, __assert_fail@rel32@lo+4
	s_addc_u32 s3, s3, __assert_fail@rel32@hi+12
	s_delay_alu instid0(SALU_CYCLE_1)
	s_swappc_b64 s[30:31], s[2:3]
	.section	.rodata,"a",@progbits
	.p2align	6, 0x0
	.amdhsa_kernel _Z17wvSplitKQ_hf_sml_I6__halfN3c1013Float8_e4m3fnELi64ELi2ELi16ELi16ELi2ELi2EEviiiPKT0_S5_PT_PKfS9_ii
		.amdhsa_group_segment_fixed_size 0
		.amdhsa_private_segment_fixed_size 64
		.amdhsa_kernarg_size 320
		.amdhsa_user_sgpr_count 15
		.amdhsa_user_sgpr_dispatch_ptr 0
		.amdhsa_user_sgpr_queue_ptr 0
		.amdhsa_user_sgpr_kernarg_segment_ptr 1
		.amdhsa_user_sgpr_dispatch_id 0
		.amdhsa_user_sgpr_private_segment_size 0
		.amdhsa_wavefront_size32 1
		.amdhsa_uses_dynamic_stack 0
		.amdhsa_enable_private_segment 1
		.amdhsa_system_sgpr_workgroup_id_x 1
		.amdhsa_system_sgpr_workgroup_id_y 0
		.amdhsa_system_sgpr_workgroup_id_z 0
		.amdhsa_system_sgpr_workgroup_info 0
		.amdhsa_system_vgpr_workitem_id 0
		.amdhsa_next_free_vgpr 50
		.amdhsa_next_free_sgpr 34
		.amdhsa_reserve_vcc 1
		.amdhsa_float_round_mode_32 0
		.amdhsa_float_round_mode_16_64 0
		.amdhsa_float_denorm_mode_32 3
		.amdhsa_float_denorm_mode_16_64 3
		.amdhsa_dx10_clamp 1
		.amdhsa_ieee_mode 1
		.amdhsa_fp16_overflow 0
		.amdhsa_workgroup_processor_mode 1
		.amdhsa_memory_ordered 1
		.amdhsa_forward_progress 0
		.amdhsa_shared_vgpr_count 0
		.amdhsa_exception_fp_ieee_invalid_op 0
		.amdhsa_exception_fp_denorm_src 0
		.amdhsa_exception_fp_ieee_div_zero 0
		.amdhsa_exception_fp_ieee_overflow 0
		.amdhsa_exception_fp_ieee_underflow 0
		.amdhsa_exception_fp_ieee_inexact 0
		.amdhsa_exception_int_div_zero 0
	.end_amdhsa_kernel
	.section	.text._Z17wvSplitKQ_hf_sml_I6__halfN3c1013Float8_e4m3fnELi64ELi2ELi16ELi16ELi2ELi2EEviiiPKT0_S5_PT_PKfS9_ii,"axG",@progbits,_Z17wvSplitKQ_hf_sml_I6__halfN3c1013Float8_e4m3fnELi64ELi2ELi16ELi16ELi2ELi2EEviiiPKT0_S5_PT_PKfS9_ii,comdat
.Lfunc_end36:
	.size	_Z17wvSplitKQ_hf_sml_I6__halfN3c1013Float8_e4m3fnELi64ELi2ELi16ELi16ELi2ELi2EEviiiPKT0_S5_PT_PKfS9_ii, .Lfunc_end36-_Z17wvSplitKQ_hf_sml_I6__halfN3c1013Float8_e4m3fnELi64ELi2ELi16ELi16ELi2ELi2EEviiiPKT0_S5_PT_PKfS9_ii
                                        ; -- End function
	.section	.AMDGPU.csdata,"",@progbits
; Kernel info:
; codeLenInByte = 76
; NumSgprs: 36
; NumVgprs: 50
; ScratchSize: 64
; MemoryBound: 0
; FloatMode: 240
; IeeeMode: 1
; LDSByteSize: 0 bytes/workgroup (compile time only)
; SGPRBlocks: 4
; VGPRBlocks: 6
; NumSGPRsForWavesPerEU: 36
; NumVGPRsForWavesPerEU: 50
; Occupancy: 16
; WaveLimiterHint : 1
; COMPUTE_PGM_RSRC2:SCRATCH_EN: 1
; COMPUTE_PGM_RSRC2:USER_SGPR: 15
; COMPUTE_PGM_RSRC2:TRAP_HANDLER: 0
; COMPUTE_PGM_RSRC2:TGID_X_EN: 1
; COMPUTE_PGM_RSRC2:TGID_Y_EN: 0
; COMPUTE_PGM_RSRC2:TGID_Z_EN: 0
; COMPUTE_PGM_RSRC2:TIDIG_COMP_CNT: 0
	.section	.text._Z13wvSplitKQ_hf_I6__halfN3c1013Float8_e4m3fnELi64ELi2ELi16ELi16ELi2ELi2EEviiiPKT0_S5_PT_PKfS9_ii,"axG",@progbits,_Z13wvSplitKQ_hf_I6__halfN3c1013Float8_e4m3fnELi64ELi2ELi16ELi16ELi2ELi2EEviiiPKT0_S5_PT_PKfS9_ii,comdat
	.protected	_Z13wvSplitKQ_hf_I6__halfN3c1013Float8_e4m3fnELi64ELi2ELi16ELi16ELi2ELi2EEviiiPKT0_S5_PT_PKfS9_ii ; -- Begin function _Z13wvSplitKQ_hf_I6__halfN3c1013Float8_e4m3fnELi64ELi2ELi16ELi16ELi2ELi2EEviiiPKT0_S5_PT_PKfS9_ii
	.globl	_Z13wvSplitKQ_hf_I6__halfN3c1013Float8_e4m3fnELi64ELi2ELi16ELi16ELi2ELi2EEviiiPKT0_S5_PT_PKfS9_ii
	.p2align	8
	.type	_Z13wvSplitKQ_hf_I6__halfN3c1013Float8_e4m3fnELi64ELi2ELi16ELi16ELi2ELi2EEviiiPKT0_S5_PT_PKfS9_ii,@function
_Z13wvSplitKQ_hf_I6__halfN3c1013Float8_e4m3fnELi64ELi2ELi16ELi16ELi2ELi2EEviiiPKT0_S5_PT_PKfS9_ii: ; @_Z13wvSplitKQ_hf_I6__halfN3c1013Float8_e4m3fnELi64ELi2ELi16ELi16ELi2ELi2EEviiiPKT0_S5_PT_PKfS9_ii
; %bb.0:
	s_add_u32 s8, s0, 64
	s_addc_u32 s9, s1, 0
	s_getpc_b64 s[0:1]
	s_add_u32 s0, s0, __PRETTY_FUNCTION__._Z13wvSplitKQ_hf_I6__halfN3c1013Float8_e4m3fnELi64ELi2ELi16ELi16ELi2ELi2EEviiiPKT0_S5_PT_PKfS9_ii@rel32@lo+4
	s_addc_u32 s1, s1, __PRETTY_FUNCTION__._Z13wvSplitKQ_hf_I6__halfN3c1013Float8_e4m3fnELi64ELi2ELi16ELi16ELi2ELi2EEviiiPKT0_S5_PT_PKfS9_ii@rel32@hi+12
	v_dual_mov_b32 v0, 0x66e :: v_dual_mov_b32 v1, s0
	v_mov_b32_e32 v2, s1
	s_mov_b32 s32, 0
	s_getpc_b64 s[2:3]
	s_add_u32 s2, s2, __assert_fail@rel32@lo+4
	s_addc_u32 s3, s3, __assert_fail@rel32@hi+12
	s_delay_alu instid0(SALU_CYCLE_1)
	s_swappc_b64 s[30:31], s[2:3]
	.section	.rodata,"a",@progbits
	.p2align	6, 0x0
	.amdhsa_kernel _Z13wvSplitKQ_hf_I6__halfN3c1013Float8_e4m3fnELi64ELi2ELi16ELi16ELi2ELi2EEviiiPKT0_S5_PT_PKfS9_ii
		.amdhsa_group_segment_fixed_size 0
		.amdhsa_private_segment_fixed_size 64
		.amdhsa_kernarg_size 320
		.amdhsa_user_sgpr_count 15
		.amdhsa_user_sgpr_dispatch_ptr 0
		.amdhsa_user_sgpr_queue_ptr 0
		.amdhsa_user_sgpr_kernarg_segment_ptr 1
		.amdhsa_user_sgpr_dispatch_id 0
		.amdhsa_user_sgpr_private_segment_size 0
		.amdhsa_wavefront_size32 1
		.amdhsa_uses_dynamic_stack 0
		.amdhsa_enable_private_segment 1
		.amdhsa_system_sgpr_workgroup_id_x 1
		.amdhsa_system_sgpr_workgroup_id_y 0
		.amdhsa_system_sgpr_workgroup_id_z 0
		.amdhsa_system_sgpr_workgroup_info 0
		.amdhsa_system_vgpr_workitem_id 0
		.amdhsa_next_free_vgpr 50
		.amdhsa_next_free_sgpr 34
		.amdhsa_reserve_vcc 1
		.amdhsa_float_round_mode_32 0
		.amdhsa_float_round_mode_16_64 0
		.amdhsa_float_denorm_mode_32 3
		.amdhsa_float_denorm_mode_16_64 3
		.amdhsa_dx10_clamp 1
		.amdhsa_ieee_mode 1
		.amdhsa_fp16_overflow 0
		.amdhsa_workgroup_processor_mode 1
		.amdhsa_memory_ordered 1
		.amdhsa_forward_progress 0
		.amdhsa_shared_vgpr_count 0
		.amdhsa_exception_fp_ieee_invalid_op 0
		.amdhsa_exception_fp_denorm_src 0
		.amdhsa_exception_fp_ieee_div_zero 0
		.amdhsa_exception_fp_ieee_overflow 0
		.amdhsa_exception_fp_ieee_underflow 0
		.amdhsa_exception_fp_ieee_inexact 0
		.amdhsa_exception_int_div_zero 0
	.end_amdhsa_kernel
	.section	.text._Z13wvSplitKQ_hf_I6__halfN3c1013Float8_e4m3fnELi64ELi2ELi16ELi16ELi2ELi2EEviiiPKT0_S5_PT_PKfS9_ii,"axG",@progbits,_Z13wvSplitKQ_hf_I6__halfN3c1013Float8_e4m3fnELi64ELi2ELi16ELi16ELi2ELi2EEviiiPKT0_S5_PT_PKfS9_ii,comdat
.Lfunc_end37:
	.size	_Z13wvSplitKQ_hf_I6__halfN3c1013Float8_e4m3fnELi64ELi2ELi16ELi16ELi2ELi2EEviiiPKT0_S5_PT_PKfS9_ii, .Lfunc_end37-_Z13wvSplitKQ_hf_I6__halfN3c1013Float8_e4m3fnELi64ELi2ELi16ELi16ELi2ELi2EEviiiPKT0_S5_PT_PKfS9_ii
                                        ; -- End function
	.section	.AMDGPU.csdata,"",@progbits
; Kernel info:
; codeLenInByte = 76
; NumSgprs: 36
; NumVgprs: 50
; ScratchSize: 64
; MemoryBound: 0
; FloatMode: 240
; IeeeMode: 1
; LDSByteSize: 0 bytes/workgroup (compile time only)
; SGPRBlocks: 4
; VGPRBlocks: 6
; NumSGPRsForWavesPerEU: 36
; NumVGPRsForWavesPerEU: 50
; Occupancy: 16
; WaveLimiterHint : 1
; COMPUTE_PGM_RSRC2:SCRATCH_EN: 1
; COMPUTE_PGM_RSRC2:USER_SGPR: 15
; COMPUTE_PGM_RSRC2:TRAP_HANDLER: 0
; COMPUTE_PGM_RSRC2:TGID_X_EN: 1
; COMPUTE_PGM_RSRC2:TGID_Y_EN: 0
; COMPUTE_PGM_RSRC2:TGID_Z_EN: 0
; COMPUTE_PGM_RSRC2:TIDIG_COMP_CNT: 0
	.section	.text._Z17wvSplitKQ_hf_sml_I6__halfN3c1013Float8_e4m3fnELi64ELi4ELi16ELi16ELi1ELi3EEviiiPKT0_S5_PT_PKfS9_ii,"axG",@progbits,_Z17wvSplitKQ_hf_sml_I6__halfN3c1013Float8_e4m3fnELi64ELi4ELi16ELi16ELi1ELi3EEviiiPKT0_S5_PT_PKfS9_ii,comdat
	.protected	_Z17wvSplitKQ_hf_sml_I6__halfN3c1013Float8_e4m3fnELi64ELi4ELi16ELi16ELi1ELi3EEviiiPKT0_S5_PT_PKfS9_ii ; -- Begin function _Z17wvSplitKQ_hf_sml_I6__halfN3c1013Float8_e4m3fnELi64ELi4ELi16ELi16ELi1ELi3EEviiiPKT0_S5_PT_PKfS9_ii
	.globl	_Z17wvSplitKQ_hf_sml_I6__halfN3c1013Float8_e4m3fnELi64ELi4ELi16ELi16ELi1ELi3EEviiiPKT0_S5_PT_PKfS9_ii
	.p2align	8
	.type	_Z17wvSplitKQ_hf_sml_I6__halfN3c1013Float8_e4m3fnELi64ELi4ELi16ELi16ELi1ELi3EEviiiPKT0_S5_PT_PKfS9_ii,@function
_Z17wvSplitKQ_hf_sml_I6__halfN3c1013Float8_e4m3fnELi64ELi4ELi16ELi16ELi1ELi3EEviiiPKT0_S5_PT_PKfS9_ii: ; @_Z17wvSplitKQ_hf_sml_I6__halfN3c1013Float8_e4m3fnELi64ELi4ELi16ELi16ELi1ELi3EEviiiPKT0_S5_PT_PKfS9_ii
; %bb.0:
	s_add_u32 s8, s0, 64
	s_addc_u32 s9, s1, 0
	s_getpc_b64 s[0:1]
	s_add_u32 s0, s0, __PRETTY_FUNCTION__._Z17wvSplitKQ_hf_sml_I6__halfN3c1013Float8_e4m3fnELi64ELi4ELi16ELi16ELi1ELi3EEviiiPKT0_S5_PT_PKfS9_ii@rel32@lo+4
	s_addc_u32 s1, s1, __PRETTY_FUNCTION__._Z17wvSplitKQ_hf_sml_I6__halfN3c1013Float8_e4m3fnELi64ELi4ELi16ELi16ELi1ELi3EEviiiPKT0_S5_PT_PKfS9_ii@rel32@hi+12
	v_dual_mov_b32 v0, 0x5c1 :: v_dual_mov_b32 v1, s0
	v_mov_b32_e32 v2, s1
	s_mov_b32 s32, 0
	s_getpc_b64 s[2:3]
	s_add_u32 s2, s2, __assert_fail@rel32@lo+4
	s_addc_u32 s3, s3, __assert_fail@rel32@hi+12
	s_delay_alu instid0(SALU_CYCLE_1)
	s_swappc_b64 s[30:31], s[2:3]
	.section	.rodata,"a",@progbits
	.p2align	6, 0x0
	.amdhsa_kernel _Z17wvSplitKQ_hf_sml_I6__halfN3c1013Float8_e4m3fnELi64ELi4ELi16ELi16ELi1ELi3EEviiiPKT0_S5_PT_PKfS9_ii
		.amdhsa_group_segment_fixed_size 0
		.amdhsa_private_segment_fixed_size 64
		.amdhsa_kernarg_size 320
		.amdhsa_user_sgpr_count 15
		.amdhsa_user_sgpr_dispatch_ptr 0
		.amdhsa_user_sgpr_queue_ptr 0
		.amdhsa_user_sgpr_kernarg_segment_ptr 1
		.amdhsa_user_sgpr_dispatch_id 0
		.amdhsa_user_sgpr_private_segment_size 0
		.amdhsa_wavefront_size32 1
		.amdhsa_uses_dynamic_stack 0
		.amdhsa_enable_private_segment 1
		.amdhsa_system_sgpr_workgroup_id_x 1
		.amdhsa_system_sgpr_workgroup_id_y 0
		.amdhsa_system_sgpr_workgroup_id_z 0
		.amdhsa_system_sgpr_workgroup_info 0
		.amdhsa_system_vgpr_workitem_id 0
		.amdhsa_next_free_vgpr 50
		.amdhsa_next_free_sgpr 34
		.amdhsa_reserve_vcc 1
		.amdhsa_float_round_mode_32 0
		.amdhsa_float_round_mode_16_64 0
		.amdhsa_float_denorm_mode_32 3
		.amdhsa_float_denorm_mode_16_64 3
		.amdhsa_dx10_clamp 1
		.amdhsa_ieee_mode 1
		.amdhsa_fp16_overflow 0
		.amdhsa_workgroup_processor_mode 1
		.amdhsa_memory_ordered 1
		.amdhsa_forward_progress 0
		.amdhsa_shared_vgpr_count 0
		.amdhsa_exception_fp_ieee_invalid_op 0
		.amdhsa_exception_fp_denorm_src 0
		.amdhsa_exception_fp_ieee_div_zero 0
		.amdhsa_exception_fp_ieee_overflow 0
		.amdhsa_exception_fp_ieee_underflow 0
		.amdhsa_exception_fp_ieee_inexact 0
		.amdhsa_exception_int_div_zero 0
	.end_amdhsa_kernel
	.section	.text._Z17wvSplitKQ_hf_sml_I6__halfN3c1013Float8_e4m3fnELi64ELi4ELi16ELi16ELi1ELi3EEviiiPKT0_S5_PT_PKfS9_ii,"axG",@progbits,_Z17wvSplitKQ_hf_sml_I6__halfN3c1013Float8_e4m3fnELi64ELi4ELi16ELi16ELi1ELi3EEviiiPKT0_S5_PT_PKfS9_ii,comdat
.Lfunc_end38:
	.size	_Z17wvSplitKQ_hf_sml_I6__halfN3c1013Float8_e4m3fnELi64ELi4ELi16ELi16ELi1ELi3EEviiiPKT0_S5_PT_PKfS9_ii, .Lfunc_end38-_Z17wvSplitKQ_hf_sml_I6__halfN3c1013Float8_e4m3fnELi64ELi4ELi16ELi16ELi1ELi3EEviiiPKT0_S5_PT_PKfS9_ii
                                        ; -- End function
	.section	.AMDGPU.csdata,"",@progbits
; Kernel info:
; codeLenInByte = 76
; NumSgprs: 36
; NumVgprs: 50
; ScratchSize: 64
; MemoryBound: 0
; FloatMode: 240
; IeeeMode: 1
; LDSByteSize: 0 bytes/workgroup (compile time only)
; SGPRBlocks: 4
; VGPRBlocks: 6
; NumSGPRsForWavesPerEU: 36
; NumVGPRsForWavesPerEU: 50
; Occupancy: 16
; WaveLimiterHint : 1
; COMPUTE_PGM_RSRC2:SCRATCH_EN: 1
; COMPUTE_PGM_RSRC2:USER_SGPR: 15
; COMPUTE_PGM_RSRC2:TRAP_HANDLER: 0
; COMPUTE_PGM_RSRC2:TGID_X_EN: 1
; COMPUTE_PGM_RSRC2:TGID_Y_EN: 0
; COMPUTE_PGM_RSRC2:TGID_Z_EN: 0
; COMPUTE_PGM_RSRC2:TIDIG_COMP_CNT: 0
	.section	.text._Z13wvSplitKQ_hf_I6__halfN3c1013Float8_e4m3fnELi64ELi7ELi16ELi16ELi1ELi3EEviiiPKT0_S5_PT_PKfS9_ii,"axG",@progbits,_Z13wvSplitKQ_hf_I6__halfN3c1013Float8_e4m3fnELi64ELi7ELi16ELi16ELi1ELi3EEviiiPKT0_S5_PT_PKfS9_ii,comdat
	.protected	_Z13wvSplitKQ_hf_I6__halfN3c1013Float8_e4m3fnELi64ELi7ELi16ELi16ELi1ELi3EEviiiPKT0_S5_PT_PKfS9_ii ; -- Begin function _Z13wvSplitKQ_hf_I6__halfN3c1013Float8_e4m3fnELi64ELi7ELi16ELi16ELi1ELi3EEviiiPKT0_S5_PT_PKfS9_ii
	.globl	_Z13wvSplitKQ_hf_I6__halfN3c1013Float8_e4m3fnELi64ELi7ELi16ELi16ELi1ELi3EEviiiPKT0_S5_PT_PKfS9_ii
	.p2align	8
	.type	_Z13wvSplitKQ_hf_I6__halfN3c1013Float8_e4m3fnELi64ELi7ELi16ELi16ELi1ELi3EEviiiPKT0_S5_PT_PKfS9_ii,@function
_Z13wvSplitKQ_hf_I6__halfN3c1013Float8_e4m3fnELi64ELi7ELi16ELi16ELi1ELi3EEviiiPKT0_S5_PT_PKfS9_ii: ; @_Z13wvSplitKQ_hf_I6__halfN3c1013Float8_e4m3fnELi64ELi7ELi16ELi16ELi1ELi3EEviiiPKT0_S5_PT_PKfS9_ii
; %bb.0:
	s_add_u32 s8, s0, 64
	s_addc_u32 s9, s1, 0
	s_getpc_b64 s[0:1]
	s_add_u32 s0, s0, __PRETTY_FUNCTION__._Z13wvSplitKQ_hf_I6__halfN3c1013Float8_e4m3fnELi64ELi7ELi16ELi16ELi1ELi3EEviiiPKT0_S5_PT_PKfS9_ii@rel32@lo+4
	s_addc_u32 s1, s1, __PRETTY_FUNCTION__._Z13wvSplitKQ_hf_I6__halfN3c1013Float8_e4m3fnELi64ELi7ELi16ELi16ELi1ELi3EEviiiPKT0_S5_PT_PKfS9_ii@rel32@hi+12
	v_dual_mov_b32 v0, 0x66e :: v_dual_mov_b32 v1, s0
	v_mov_b32_e32 v2, s1
	s_mov_b32 s32, 0
	s_getpc_b64 s[2:3]
	s_add_u32 s2, s2, __assert_fail@rel32@lo+4
	s_addc_u32 s3, s3, __assert_fail@rel32@hi+12
	s_delay_alu instid0(SALU_CYCLE_1)
	s_swappc_b64 s[30:31], s[2:3]
	.section	.rodata,"a",@progbits
	.p2align	6, 0x0
	.amdhsa_kernel _Z13wvSplitKQ_hf_I6__halfN3c1013Float8_e4m3fnELi64ELi7ELi16ELi16ELi1ELi3EEviiiPKT0_S5_PT_PKfS9_ii
		.amdhsa_group_segment_fixed_size 0
		.amdhsa_private_segment_fixed_size 64
		.amdhsa_kernarg_size 320
		.amdhsa_user_sgpr_count 15
		.amdhsa_user_sgpr_dispatch_ptr 0
		.amdhsa_user_sgpr_queue_ptr 0
		.amdhsa_user_sgpr_kernarg_segment_ptr 1
		.amdhsa_user_sgpr_dispatch_id 0
		.amdhsa_user_sgpr_private_segment_size 0
		.amdhsa_wavefront_size32 1
		.amdhsa_uses_dynamic_stack 0
		.amdhsa_enable_private_segment 1
		.amdhsa_system_sgpr_workgroup_id_x 1
		.amdhsa_system_sgpr_workgroup_id_y 0
		.amdhsa_system_sgpr_workgroup_id_z 0
		.amdhsa_system_sgpr_workgroup_info 0
		.amdhsa_system_vgpr_workitem_id 0
		.amdhsa_next_free_vgpr 50
		.amdhsa_next_free_sgpr 34
		.amdhsa_reserve_vcc 1
		.amdhsa_float_round_mode_32 0
		.amdhsa_float_round_mode_16_64 0
		.amdhsa_float_denorm_mode_32 3
		.amdhsa_float_denorm_mode_16_64 3
		.amdhsa_dx10_clamp 1
		.amdhsa_ieee_mode 1
		.amdhsa_fp16_overflow 0
		.amdhsa_workgroup_processor_mode 1
		.amdhsa_memory_ordered 1
		.amdhsa_forward_progress 0
		.amdhsa_shared_vgpr_count 0
		.amdhsa_exception_fp_ieee_invalid_op 0
		.amdhsa_exception_fp_denorm_src 0
		.amdhsa_exception_fp_ieee_div_zero 0
		.amdhsa_exception_fp_ieee_overflow 0
		.amdhsa_exception_fp_ieee_underflow 0
		.amdhsa_exception_fp_ieee_inexact 0
		.amdhsa_exception_int_div_zero 0
	.end_amdhsa_kernel
	.section	.text._Z13wvSplitKQ_hf_I6__halfN3c1013Float8_e4m3fnELi64ELi7ELi16ELi16ELi1ELi3EEviiiPKT0_S5_PT_PKfS9_ii,"axG",@progbits,_Z13wvSplitKQ_hf_I6__halfN3c1013Float8_e4m3fnELi64ELi7ELi16ELi16ELi1ELi3EEviiiPKT0_S5_PT_PKfS9_ii,comdat
.Lfunc_end39:
	.size	_Z13wvSplitKQ_hf_I6__halfN3c1013Float8_e4m3fnELi64ELi7ELi16ELi16ELi1ELi3EEviiiPKT0_S5_PT_PKfS9_ii, .Lfunc_end39-_Z13wvSplitKQ_hf_I6__halfN3c1013Float8_e4m3fnELi64ELi7ELi16ELi16ELi1ELi3EEviiiPKT0_S5_PT_PKfS9_ii
                                        ; -- End function
	.section	.AMDGPU.csdata,"",@progbits
; Kernel info:
; codeLenInByte = 76
; NumSgprs: 36
; NumVgprs: 50
; ScratchSize: 64
; MemoryBound: 0
; FloatMode: 240
; IeeeMode: 1
; LDSByteSize: 0 bytes/workgroup (compile time only)
; SGPRBlocks: 4
; VGPRBlocks: 6
; NumSGPRsForWavesPerEU: 36
; NumVGPRsForWavesPerEU: 50
; Occupancy: 16
; WaveLimiterHint : 1
; COMPUTE_PGM_RSRC2:SCRATCH_EN: 1
; COMPUTE_PGM_RSRC2:USER_SGPR: 15
; COMPUTE_PGM_RSRC2:TRAP_HANDLER: 0
; COMPUTE_PGM_RSRC2:TGID_X_EN: 1
; COMPUTE_PGM_RSRC2:TGID_Y_EN: 0
; COMPUTE_PGM_RSRC2:TGID_Z_EN: 0
; COMPUTE_PGM_RSRC2:TIDIG_COMP_CNT: 0
	.section	.text._Z17wvSplitKQ_hf_sml_I6__halfN3c1013Float8_e4m3fnELi64ELi4ELi16ELi16ELi1ELi4EEviiiPKT0_S5_PT_PKfS9_ii,"axG",@progbits,_Z17wvSplitKQ_hf_sml_I6__halfN3c1013Float8_e4m3fnELi64ELi4ELi16ELi16ELi1ELi4EEviiiPKT0_S5_PT_PKfS9_ii,comdat
	.protected	_Z17wvSplitKQ_hf_sml_I6__halfN3c1013Float8_e4m3fnELi64ELi4ELi16ELi16ELi1ELi4EEviiiPKT0_S5_PT_PKfS9_ii ; -- Begin function _Z17wvSplitKQ_hf_sml_I6__halfN3c1013Float8_e4m3fnELi64ELi4ELi16ELi16ELi1ELi4EEviiiPKT0_S5_PT_PKfS9_ii
	.globl	_Z17wvSplitKQ_hf_sml_I6__halfN3c1013Float8_e4m3fnELi64ELi4ELi16ELi16ELi1ELi4EEviiiPKT0_S5_PT_PKfS9_ii
	.p2align	8
	.type	_Z17wvSplitKQ_hf_sml_I6__halfN3c1013Float8_e4m3fnELi64ELi4ELi16ELi16ELi1ELi4EEviiiPKT0_S5_PT_PKfS9_ii,@function
_Z17wvSplitKQ_hf_sml_I6__halfN3c1013Float8_e4m3fnELi64ELi4ELi16ELi16ELi1ELi4EEviiiPKT0_S5_PT_PKfS9_ii: ; @_Z17wvSplitKQ_hf_sml_I6__halfN3c1013Float8_e4m3fnELi64ELi4ELi16ELi16ELi1ELi4EEviiiPKT0_S5_PT_PKfS9_ii
; %bb.0:
	s_add_u32 s8, s0, 64
	s_addc_u32 s9, s1, 0
	s_getpc_b64 s[0:1]
	s_add_u32 s0, s0, __PRETTY_FUNCTION__._Z17wvSplitKQ_hf_sml_I6__halfN3c1013Float8_e4m3fnELi64ELi4ELi16ELi16ELi1ELi4EEviiiPKT0_S5_PT_PKfS9_ii@rel32@lo+4
	s_addc_u32 s1, s1, __PRETTY_FUNCTION__._Z17wvSplitKQ_hf_sml_I6__halfN3c1013Float8_e4m3fnELi64ELi4ELi16ELi16ELi1ELi4EEviiiPKT0_S5_PT_PKfS9_ii@rel32@hi+12
	v_dual_mov_b32 v0, 0x5c1 :: v_dual_mov_b32 v1, s0
	v_mov_b32_e32 v2, s1
	s_mov_b32 s32, 0
	s_getpc_b64 s[2:3]
	s_add_u32 s2, s2, __assert_fail@rel32@lo+4
	s_addc_u32 s3, s3, __assert_fail@rel32@hi+12
	s_delay_alu instid0(SALU_CYCLE_1)
	s_swappc_b64 s[30:31], s[2:3]
	.section	.rodata,"a",@progbits
	.p2align	6, 0x0
	.amdhsa_kernel _Z17wvSplitKQ_hf_sml_I6__halfN3c1013Float8_e4m3fnELi64ELi4ELi16ELi16ELi1ELi4EEviiiPKT0_S5_PT_PKfS9_ii
		.amdhsa_group_segment_fixed_size 0
		.amdhsa_private_segment_fixed_size 64
		.amdhsa_kernarg_size 320
		.amdhsa_user_sgpr_count 15
		.amdhsa_user_sgpr_dispatch_ptr 0
		.amdhsa_user_sgpr_queue_ptr 0
		.amdhsa_user_sgpr_kernarg_segment_ptr 1
		.amdhsa_user_sgpr_dispatch_id 0
		.amdhsa_user_sgpr_private_segment_size 0
		.amdhsa_wavefront_size32 1
		.amdhsa_uses_dynamic_stack 0
		.amdhsa_enable_private_segment 1
		.amdhsa_system_sgpr_workgroup_id_x 1
		.amdhsa_system_sgpr_workgroup_id_y 0
		.amdhsa_system_sgpr_workgroup_id_z 0
		.amdhsa_system_sgpr_workgroup_info 0
		.amdhsa_system_vgpr_workitem_id 0
		.amdhsa_next_free_vgpr 50
		.amdhsa_next_free_sgpr 34
		.amdhsa_reserve_vcc 1
		.amdhsa_float_round_mode_32 0
		.amdhsa_float_round_mode_16_64 0
		.amdhsa_float_denorm_mode_32 3
		.amdhsa_float_denorm_mode_16_64 3
		.amdhsa_dx10_clamp 1
		.amdhsa_ieee_mode 1
		.amdhsa_fp16_overflow 0
		.amdhsa_workgroup_processor_mode 1
		.amdhsa_memory_ordered 1
		.amdhsa_forward_progress 0
		.amdhsa_shared_vgpr_count 0
		.amdhsa_exception_fp_ieee_invalid_op 0
		.amdhsa_exception_fp_denorm_src 0
		.amdhsa_exception_fp_ieee_div_zero 0
		.amdhsa_exception_fp_ieee_overflow 0
		.amdhsa_exception_fp_ieee_underflow 0
		.amdhsa_exception_fp_ieee_inexact 0
		.amdhsa_exception_int_div_zero 0
	.end_amdhsa_kernel
	.section	.text._Z17wvSplitKQ_hf_sml_I6__halfN3c1013Float8_e4m3fnELi64ELi4ELi16ELi16ELi1ELi4EEviiiPKT0_S5_PT_PKfS9_ii,"axG",@progbits,_Z17wvSplitKQ_hf_sml_I6__halfN3c1013Float8_e4m3fnELi64ELi4ELi16ELi16ELi1ELi4EEviiiPKT0_S5_PT_PKfS9_ii,comdat
.Lfunc_end40:
	.size	_Z17wvSplitKQ_hf_sml_I6__halfN3c1013Float8_e4m3fnELi64ELi4ELi16ELi16ELi1ELi4EEviiiPKT0_S5_PT_PKfS9_ii, .Lfunc_end40-_Z17wvSplitKQ_hf_sml_I6__halfN3c1013Float8_e4m3fnELi64ELi4ELi16ELi16ELi1ELi4EEviiiPKT0_S5_PT_PKfS9_ii
                                        ; -- End function
	.section	.AMDGPU.csdata,"",@progbits
; Kernel info:
; codeLenInByte = 76
; NumSgprs: 36
; NumVgprs: 50
; ScratchSize: 64
; MemoryBound: 0
; FloatMode: 240
; IeeeMode: 1
; LDSByteSize: 0 bytes/workgroup (compile time only)
; SGPRBlocks: 4
; VGPRBlocks: 6
; NumSGPRsForWavesPerEU: 36
; NumVGPRsForWavesPerEU: 50
; Occupancy: 16
; WaveLimiterHint : 1
; COMPUTE_PGM_RSRC2:SCRATCH_EN: 1
; COMPUTE_PGM_RSRC2:USER_SGPR: 15
; COMPUTE_PGM_RSRC2:TRAP_HANDLER: 0
; COMPUTE_PGM_RSRC2:TGID_X_EN: 1
; COMPUTE_PGM_RSRC2:TGID_Y_EN: 0
; COMPUTE_PGM_RSRC2:TGID_Z_EN: 0
; COMPUTE_PGM_RSRC2:TIDIG_COMP_CNT: 0
	.section	.text._Z13wvSplitKQ_hf_I6__halfN3c1013Float8_e4m3fnELi64ELi7ELi16ELi16ELi1ELi4EEviiiPKT0_S5_PT_PKfS9_ii,"axG",@progbits,_Z13wvSplitKQ_hf_I6__halfN3c1013Float8_e4m3fnELi64ELi7ELi16ELi16ELi1ELi4EEviiiPKT0_S5_PT_PKfS9_ii,comdat
	.protected	_Z13wvSplitKQ_hf_I6__halfN3c1013Float8_e4m3fnELi64ELi7ELi16ELi16ELi1ELi4EEviiiPKT0_S5_PT_PKfS9_ii ; -- Begin function _Z13wvSplitKQ_hf_I6__halfN3c1013Float8_e4m3fnELi64ELi7ELi16ELi16ELi1ELi4EEviiiPKT0_S5_PT_PKfS9_ii
	.globl	_Z13wvSplitKQ_hf_I6__halfN3c1013Float8_e4m3fnELi64ELi7ELi16ELi16ELi1ELi4EEviiiPKT0_S5_PT_PKfS9_ii
	.p2align	8
	.type	_Z13wvSplitKQ_hf_I6__halfN3c1013Float8_e4m3fnELi64ELi7ELi16ELi16ELi1ELi4EEviiiPKT0_S5_PT_PKfS9_ii,@function
_Z13wvSplitKQ_hf_I6__halfN3c1013Float8_e4m3fnELi64ELi7ELi16ELi16ELi1ELi4EEviiiPKT0_S5_PT_PKfS9_ii: ; @_Z13wvSplitKQ_hf_I6__halfN3c1013Float8_e4m3fnELi64ELi7ELi16ELi16ELi1ELi4EEviiiPKT0_S5_PT_PKfS9_ii
; %bb.0:
	s_add_u32 s8, s0, 64
	s_addc_u32 s9, s1, 0
	s_getpc_b64 s[0:1]
	s_add_u32 s0, s0, __PRETTY_FUNCTION__._Z13wvSplitKQ_hf_I6__halfN3c1013Float8_e4m3fnELi64ELi7ELi16ELi16ELi1ELi4EEviiiPKT0_S5_PT_PKfS9_ii@rel32@lo+4
	s_addc_u32 s1, s1, __PRETTY_FUNCTION__._Z13wvSplitKQ_hf_I6__halfN3c1013Float8_e4m3fnELi64ELi7ELi16ELi16ELi1ELi4EEviiiPKT0_S5_PT_PKfS9_ii@rel32@hi+12
	v_dual_mov_b32 v0, 0x66e :: v_dual_mov_b32 v1, s0
	v_mov_b32_e32 v2, s1
	s_mov_b32 s32, 0
	s_getpc_b64 s[2:3]
	s_add_u32 s2, s2, __assert_fail@rel32@lo+4
	s_addc_u32 s3, s3, __assert_fail@rel32@hi+12
	s_delay_alu instid0(SALU_CYCLE_1)
	s_swappc_b64 s[30:31], s[2:3]
	.section	.rodata,"a",@progbits
	.p2align	6, 0x0
	.amdhsa_kernel _Z13wvSplitKQ_hf_I6__halfN3c1013Float8_e4m3fnELi64ELi7ELi16ELi16ELi1ELi4EEviiiPKT0_S5_PT_PKfS9_ii
		.amdhsa_group_segment_fixed_size 0
		.amdhsa_private_segment_fixed_size 64
		.amdhsa_kernarg_size 320
		.amdhsa_user_sgpr_count 15
		.amdhsa_user_sgpr_dispatch_ptr 0
		.amdhsa_user_sgpr_queue_ptr 0
		.amdhsa_user_sgpr_kernarg_segment_ptr 1
		.amdhsa_user_sgpr_dispatch_id 0
		.amdhsa_user_sgpr_private_segment_size 0
		.amdhsa_wavefront_size32 1
		.amdhsa_uses_dynamic_stack 0
		.amdhsa_enable_private_segment 1
		.amdhsa_system_sgpr_workgroup_id_x 1
		.amdhsa_system_sgpr_workgroup_id_y 0
		.amdhsa_system_sgpr_workgroup_id_z 0
		.amdhsa_system_sgpr_workgroup_info 0
		.amdhsa_system_vgpr_workitem_id 0
		.amdhsa_next_free_vgpr 50
		.amdhsa_next_free_sgpr 34
		.amdhsa_reserve_vcc 1
		.amdhsa_float_round_mode_32 0
		.amdhsa_float_round_mode_16_64 0
		.amdhsa_float_denorm_mode_32 3
		.amdhsa_float_denorm_mode_16_64 3
		.amdhsa_dx10_clamp 1
		.amdhsa_ieee_mode 1
		.amdhsa_fp16_overflow 0
		.amdhsa_workgroup_processor_mode 1
		.amdhsa_memory_ordered 1
		.amdhsa_forward_progress 0
		.amdhsa_shared_vgpr_count 0
		.amdhsa_exception_fp_ieee_invalid_op 0
		.amdhsa_exception_fp_denorm_src 0
		.amdhsa_exception_fp_ieee_div_zero 0
		.amdhsa_exception_fp_ieee_overflow 0
		.amdhsa_exception_fp_ieee_underflow 0
		.amdhsa_exception_fp_ieee_inexact 0
		.amdhsa_exception_int_div_zero 0
	.end_amdhsa_kernel
	.section	.text._Z13wvSplitKQ_hf_I6__halfN3c1013Float8_e4m3fnELi64ELi7ELi16ELi16ELi1ELi4EEviiiPKT0_S5_PT_PKfS9_ii,"axG",@progbits,_Z13wvSplitKQ_hf_I6__halfN3c1013Float8_e4m3fnELi64ELi7ELi16ELi16ELi1ELi4EEviiiPKT0_S5_PT_PKfS9_ii,comdat
.Lfunc_end41:
	.size	_Z13wvSplitKQ_hf_I6__halfN3c1013Float8_e4m3fnELi64ELi7ELi16ELi16ELi1ELi4EEviiiPKT0_S5_PT_PKfS9_ii, .Lfunc_end41-_Z13wvSplitKQ_hf_I6__halfN3c1013Float8_e4m3fnELi64ELi7ELi16ELi16ELi1ELi4EEviiiPKT0_S5_PT_PKfS9_ii
                                        ; -- End function
	.section	.AMDGPU.csdata,"",@progbits
; Kernel info:
; codeLenInByte = 76
; NumSgprs: 36
; NumVgprs: 50
; ScratchSize: 64
; MemoryBound: 0
; FloatMode: 240
; IeeeMode: 1
; LDSByteSize: 0 bytes/workgroup (compile time only)
; SGPRBlocks: 4
; VGPRBlocks: 6
; NumSGPRsForWavesPerEU: 36
; NumVGPRsForWavesPerEU: 50
; Occupancy: 16
; WaveLimiterHint : 1
; COMPUTE_PGM_RSRC2:SCRATCH_EN: 1
; COMPUTE_PGM_RSRC2:USER_SGPR: 15
; COMPUTE_PGM_RSRC2:TRAP_HANDLER: 0
; COMPUTE_PGM_RSRC2:TGID_X_EN: 1
; COMPUTE_PGM_RSRC2:TGID_Y_EN: 0
; COMPUTE_PGM_RSRC2:TGID_Z_EN: 0
; COMPUTE_PGM_RSRC2:TIDIG_COMP_CNT: 0
	.section	.text._Z17wvSplitKQ_hf_sml_I6__halfN3c1015Float8_e4m3fnuzELi64ELi2ELi16ELi16ELi2ELi1EEviiiPKT0_S5_PT_PKfS9_ii,"axG",@progbits,_Z17wvSplitKQ_hf_sml_I6__halfN3c1015Float8_e4m3fnuzELi64ELi2ELi16ELi16ELi2ELi1EEviiiPKT0_S5_PT_PKfS9_ii,comdat
	.protected	_Z17wvSplitKQ_hf_sml_I6__halfN3c1015Float8_e4m3fnuzELi64ELi2ELi16ELi16ELi2ELi1EEviiiPKT0_S5_PT_PKfS9_ii ; -- Begin function _Z17wvSplitKQ_hf_sml_I6__halfN3c1015Float8_e4m3fnuzELi64ELi2ELi16ELi16ELi2ELi1EEviiiPKT0_S5_PT_PKfS9_ii
	.globl	_Z17wvSplitKQ_hf_sml_I6__halfN3c1015Float8_e4m3fnuzELi64ELi2ELi16ELi16ELi2ELi1EEviiiPKT0_S5_PT_PKfS9_ii
	.p2align	8
	.type	_Z17wvSplitKQ_hf_sml_I6__halfN3c1015Float8_e4m3fnuzELi64ELi2ELi16ELi16ELi2ELi1EEviiiPKT0_S5_PT_PKfS9_ii,@function
_Z17wvSplitKQ_hf_sml_I6__halfN3c1015Float8_e4m3fnuzELi64ELi2ELi16ELi16ELi2ELi1EEviiiPKT0_S5_PT_PKfS9_ii: ; @_Z17wvSplitKQ_hf_sml_I6__halfN3c1015Float8_e4m3fnuzELi64ELi2ELi16ELi16ELi2ELi1EEviiiPKT0_S5_PT_PKfS9_ii
; %bb.0:
	s_add_u32 s8, s0, 64
	s_addc_u32 s9, s1, 0
	s_getpc_b64 s[0:1]
	s_add_u32 s0, s0, __PRETTY_FUNCTION__._Z17wvSplitKQ_hf_sml_I6__halfN3c1015Float8_e4m3fnuzELi64ELi2ELi16ELi16ELi2ELi1EEviiiPKT0_S5_PT_PKfS9_ii@rel32@lo+4
	s_addc_u32 s1, s1, __PRETTY_FUNCTION__._Z17wvSplitKQ_hf_sml_I6__halfN3c1015Float8_e4m3fnuzELi64ELi2ELi16ELi16ELi2ELi1EEviiiPKT0_S5_PT_PKfS9_ii@rel32@hi+12
	v_dual_mov_b32 v0, 0x5c1 :: v_dual_mov_b32 v1, s0
	v_mov_b32_e32 v2, s1
	s_mov_b32 s32, 0
	s_getpc_b64 s[2:3]
	s_add_u32 s2, s2, __assert_fail@rel32@lo+4
	s_addc_u32 s3, s3, __assert_fail@rel32@hi+12
	s_delay_alu instid0(SALU_CYCLE_1)
	s_swappc_b64 s[30:31], s[2:3]
	.section	.rodata,"a",@progbits
	.p2align	6, 0x0
	.amdhsa_kernel _Z17wvSplitKQ_hf_sml_I6__halfN3c1015Float8_e4m3fnuzELi64ELi2ELi16ELi16ELi2ELi1EEviiiPKT0_S5_PT_PKfS9_ii
		.amdhsa_group_segment_fixed_size 0
		.amdhsa_private_segment_fixed_size 64
		.amdhsa_kernarg_size 320
		.amdhsa_user_sgpr_count 15
		.amdhsa_user_sgpr_dispatch_ptr 0
		.amdhsa_user_sgpr_queue_ptr 0
		.amdhsa_user_sgpr_kernarg_segment_ptr 1
		.amdhsa_user_sgpr_dispatch_id 0
		.amdhsa_user_sgpr_private_segment_size 0
		.amdhsa_wavefront_size32 1
		.amdhsa_uses_dynamic_stack 0
		.amdhsa_enable_private_segment 1
		.amdhsa_system_sgpr_workgroup_id_x 1
		.amdhsa_system_sgpr_workgroup_id_y 0
		.amdhsa_system_sgpr_workgroup_id_z 0
		.amdhsa_system_sgpr_workgroup_info 0
		.amdhsa_system_vgpr_workitem_id 0
		.amdhsa_next_free_vgpr 50
		.amdhsa_next_free_sgpr 34
		.amdhsa_reserve_vcc 1
		.amdhsa_float_round_mode_32 0
		.amdhsa_float_round_mode_16_64 0
		.amdhsa_float_denorm_mode_32 3
		.amdhsa_float_denorm_mode_16_64 3
		.amdhsa_dx10_clamp 1
		.amdhsa_ieee_mode 1
		.amdhsa_fp16_overflow 0
		.amdhsa_workgroup_processor_mode 1
		.amdhsa_memory_ordered 1
		.amdhsa_forward_progress 0
		.amdhsa_shared_vgpr_count 0
		.amdhsa_exception_fp_ieee_invalid_op 0
		.amdhsa_exception_fp_denorm_src 0
		.amdhsa_exception_fp_ieee_div_zero 0
		.amdhsa_exception_fp_ieee_overflow 0
		.amdhsa_exception_fp_ieee_underflow 0
		.amdhsa_exception_fp_ieee_inexact 0
		.amdhsa_exception_int_div_zero 0
	.end_amdhsa_kernel
	.section	.text._Z17wvSplitKQ_hf_sml_I6__halfN3c1015Float8_e4m3fnuzELi64ELi2ELi16ELi16ELi2ELi1EEviiiPKT0_S5_PT_PKfS9_ii,"axG",@progbits,_Z17wvSplitKQ_hf_sml_I6__halfN3c1015Float8_e4m3fnuzELi64ELi2ELi16ELi16ELi2ELi1EEviiiPKT0_S5_PT_PKfS9_ii,comdat
.Lfunc_end42:
	.size	_Z17wvSplitKQ_hf_sml_I6__halfN3c1015Float8_e4m3fnuzELi64ELi2ELi16ELi16ELi2ELi1EEviiiPKT0_S5_PT_PKfS9_ii, .Lfunc_end42-_Z17wvSplitKQ_hf_sml_I6__halfN3c1015Float8_e4m3fnuzELi64ELi2ELi16ELi16ELi2ELi1EEviiiPKT0_S5_PT_PKfS9_ii
                                        ; -- End function
	.section	.AMDGPU.csdata,"",@progbits
; Kernel info:
; codeLenInByte = 76
; NumSgprs: 36
; NumVgprs: 50
; ScratchSize: 64
; MemoryBound: 0
; FloatMode: 240
; IeeeMode: 1
; LDSByteSize: 0 bytes/workgroup (compile time only)
; SGPRBlocks: 4
; VGPRBlocks: 6
; NumSGPRsForWavesPerEU: 36
; NumVGPRsForWavesPerEU: 50
; Occupancy: 16
; WaveLimiterHint : 1
; COMPUTE_PGM_RSRC2:SCRATCH_EN: 1
; COMPUTE_PGM_RSRC2:USER_SGPR: 15
; COMPUTE_PGM_RSRC2:TRAP_HANDLER: 0
; COMPUTE_PGM_RSRC2:TGID_X_EN: 1
; COMPUTE_PGM_RSRC2:TGID_Y_EN: 0
; COMPUTE_PGM_RSRC2:TGID_Z_EN: 0
; COMPUTE_PGM_RSRC2:TIDIG_COMP_CNT: 0
	.section	.text._Z13wvSplitKQ_hf_I6__halfN3c1015Float8_e4m3fnuzELi64ELi2ELi16ELi16ELi2ELi1EEviiiPKT0_S5_PT_PKfS9_ii,"axG",@progbits,_Z13wvSplitKQ_hf_I6__halfN3c1015Float8_e4m3fnuzELi64ELi2ELi16ELi16ELi2ELi1EEviiiPKT0_S5_PT_PKfS9_ii,comdat
	.protected	_Z13wvSplitKQ_hf_I6__halfN3c1015Float8_e4m3fnuzELi64ELi2ELi16ELi16ELi2ELi1EEviiiPKT0_S5_PT_PKfS9_ii ; -- Begin function _Z13wvSplitKQ_hf_I6__halfN3c1015Float8_e4m3fnuzELi64ELi2ELi16ELi16ELi2ELi1EEviiiPKT0_S5_PT_PKfS9_ii
	.globl	_Z13wvSplitKQ_hf_I6__halfN3c1015Float8_e4m3fnuzELi64ELi2ELi16ELi16ELi2ELi1EEviiiPKT0_S5_PT_PKfS9_ii
	.p2align	8
	.type	_Z13wvSplitKQ_hf_I6__halfN3c1015Float8_e4m3fnuzELi64ELi2ELi16ELi16ELi2ELi1EEviiiPKT0_S5_PT_PKfS9_ii,@function
_Z13wvSplitKQ_hf_I6__halfN3c1015Float8_e4m3fnuzELi64ELi2ELi16ELi16ELi2ELi1EEviiiPKT0_S5_PT_PKfS9_ii: ; @_Z13wvSplitKQ_hf_I6__halfN3c1015Float8_e4m3fnuzELi64ELi2ELi16ELi16ELi2ELi1EEviiiPKT0_S5_PT_PKfS9_ii
; %bb.0:
	s_add_u32 s8, s0, 64
	s_addc_u32 s9, s1, 0
	s_getpc_b64 s[0:1]
	s_add_u32 s0, s0, __PRETTY_FUNCTION__._Z13wvSplitKQ_hf_I6__halfN3c1015Float8_e4m3fnuzELi64ELi2ELi16ELi16ELi2ELi1EEviiiPKT0_S5_PT_PKfS9_ii@rel32@lo+4
	s_addc_u32 s1, s1, __PRETTY_FUNCTION__._Z13wvSplitKQ_hf_I6__halfN3c1015Float8_e4m3fnuzELi64ELi2ELi16ELi16ELi2ELi1EEviiiPKT0_S5_PT_PKfS9_ii@rel32@hi+12
	v_dual_mov_b32 v0, 0x66e :: v_dual_mov_b32 v1, s0
	v_mov_b32_e32 v2, s1
	s_mov_b32 s32, 0
	s_getpc_b64 s[2:3]
	s_add_u32 s2, s2, __assert_fail@rel32@lo+4
	s_addc_u32 s3, s3, __assert_fail@rel32@hi+12
	s_delay_alu instid0(SALU_CYCLE_1)
	s_swappc_b64 s[30:31], s[2:3]
	.section	.rodata,"a",@progbits
	.p2align	6, 0x0
	.amdhsa_kernel _Z13wvSplitKQ_hf_I6__halfN3c1015Float8_e4m3fnuzELi64ELi2ELi16ELi16ELi2ELi1EEviiiPKT0_S5_PT_PKfS9_ii
		.amdhsa_group_segment_fixed_size 0
		.amdhsa_private_segment_fixed_size 64
		.amdhsa_kernarg_size 320
		.amdhsa_user_sgpr_count 15
		.amdhsa_user_sgpr_dispatch_ptr 0
		.amdhsa_user_sgpr_queue_ptr 0
		.amdhsa_user_sgpr_kernarg_segment_ptr 1
		.amdhsa_user_sgpr_dispatch_id 0
		.amdhsa_user_sgpr_private_segment_size 0
		.amdhsa_wavefront_size32 1
		.amdhsa_uses_dynamic_stack 0
		.amdhsa_enable_private_segment 1
		.amdhsa_system_sgpr_workgroup_id_x 1
		.amdhsa_system_sgpr_workgroup_id_y 0
		.amdhsa_system_sgpr_workgroup_id_z 0
		.amdhsa_system_sgpr_workgroup_info 0
		.amdhsa_system_vgpr_workitem_id 0
		.amdhsa_next_free_vgpr 50
		.amdhsa_next_free_sgpr 34
		.amdhsa_reserve_vcc 1
		.amdhsa_float_round_mode_32 0
		.amdhsa_float_round_mode_16_64 0
		.amdhsa_float_denorm_mode_32 3
		.amdhsa_float_denorm_mode_16_64 3
		.amdhsa_dx10_clamp 1
		.amdhsa_ieee_mode 1
		.amdhsa_fp16_overflow 0
		.amdhsa_workgroup_processor_mode 1
		.amdhsa_memory_ordered 1
		.amdhsa_forward_progress 0
		.amdhsa_shared_vgpr_count 0
		.amdhsa_exception_fp_ieee_invalid_op 0
		.amdhsa_exception_fp_denorm_src 0
		.amdhsa_exception_fp_ieee_div_zero 0
		.amdhsa_exception_fp_ieee_overflow 0
		.amdhsa_exception_fp_ieee_underflow 0
		.amdhsa_exception_fp_ieee_inexact 0
		.amdhsa_exception_int_div_zero 0
	.end_amdhsa_kernel
	.section	.text._Z13wvSplitKQ_hf_I6__halfN3c1015Float8_e4m3fnuzELi64ELi2ELi16ELi16ELi2ELi1EEviiiPKT0_S5_PT_PKfS9_ii,"axG",@progbits,_Z13wvSplitKQ_hf_I6__halfN3c1015Float8_e4m3fnuzELi64ELi2ELi16ELi16ELi2ELi1EEviiiPKT0_S5_PT_PKfS9_ii,comdat
.Lfunc_end43:
	.size	_Z13wvSplitKQ_hf_I6__halfN3c1015Float8_e4m3fnuzELi64ELi2ELi16ELi16ELi2ELi1EEviiiPKT0_S5_PT_PKfS9_ii, .Lfunc_end43-_Z13wvSplitKQ_hf_I6__halfN3c1015Float8_e4m3fnuzELi64ELi2ELi16ELi16ELi2ELi1EEviiiPKT0_S5_PT_PKfS9_ii
                                        ; -- End function
	.section	.AMDGPU.csdata,"",@progbits
; Kernel info:
; codeLenInByte = 76
; NumSgprs: 36
; NumVgprs: 50
; ScratchSize: 64
; MemoryBound: 0
; FloatMode: 240
; IeeeMode: 1
; LDSByteSize: 0 bytes/workgroup (compile time only)
; SGPRBlocks: 4
; VGPRBlocks: 6
; NumSGPRsForWavesPerEU: 36
; NumVGPRsForWavesPerEU: 50
; Occupancy: 16
; WaveLimiterHint : 1
; COMPUTE_PGM_RSRC2:SCRATCH_EN: 1
; COMPUTE_PGM_RSRC2:USER_SGPR: 15
; COMPUTE_PGM_RSRC2:TRAP_HANDLER: 0
; COMPUTE_PGM_RSRC2:TGID_X_EN: 1
; COMPUTE_PGM_RSRC2:TGID_Y_EN: 0
; COMPUTE_PGM_RSRC2:TGID_Z_EN: 0
; COMPUTE_PGM_RSRC2:TIDIG_COMP_CNT: 0
	.section	.text._Z17wvSplitKQ_hf_sml_I6__halfN3c1015Float8_e4m3fnuzELi64ELi2ELi16ELi16ELi2ELi2EEviiiPKT0_S5_PT_PKfS9_ii,"axG",@progbits,_Z17wvSplitKQ_hf_sml_I6__halfN3c1015Float8_e4m3fnuzELi64ELi2ELi16ELi16ELi2ELi2EEviiiPKT0_S5_PT_PKfS9_ii,comdat
	.protected	_Z17wvSplitKQ_hf_sml_I6__halfN3c1015Float8_e4m3fnuzELi64ELi2ELi16ELi16ELi2ELi2EEviiiPKT0_S5_PT_PKfS9_ii ; -- Begin function _Z17wvSplitKQ_hf_sml_I6__halfN3c1015Float8_e4m3fnuzELi64ELi2ELi16ELi16ELi2ELi2EEviiiPKT0_S5_PT_PKfS9_ii
	.globl	_Z17wvSplitKQ_hf_sml_I6__halfN3c1015Float8_e4m3fnuzELi64ELi2ELi16ELi16ELi2ELi2EEviiiPKT0_S5_PT_PKfS9_ii
	.p2align	8
	.type	_Z17wvSplitKQ_hf_sml_I6__halfN3c1015Float8_e4m3fnuzELi64ELi2ELi16ELi16ELi2ELi2EEviiiPKT0_S5_PT_PKfS9_ii,@function
_Z17wvSplitKQ_hf_sml_I6__halfN3c1015Float8_e4m3fnuzELi64ELi2ELi16ELi16ELi2ELi2EEviiiPKT0_S5_PT_PKfS9_ii: ; @_Z17wvSplitKQ_hf_sml_I6__halfN3c1015Float8_e4m3fnuzELi64ELi2ELi16ELi16ELi2ELi2EEviiiPKT0_S5_PT_PKfS9_ii
; %bb.0:
	s_add_u32 s8, s0, 64
	s_addc_u32 s9, s1, 0
	s_getpc_b64 s[0:1]
	s_add_u32 s0, s0, __PRETTY_FUNCTION__._Z17wvSplitKQ_hf_sml_I6__halfN3c1015Float8_e4m3fnuzELi64ELi2ELi16ELi16ELi2ELi2EEviiiPKT0_S5_PT_PKfS9_ii@rel32@lo+4
	s_addc_u32 s1, s1, __PRETTY_FUNCTION__._Z17wvSplitKQ_hf_sml_I6__halfN3c1015Float8_e4m3fnuzELi64ELi2ELi16ELi16ELi2ELi2EEviiiPKT0_S5_PT_PKfS9_ii@rel32@hi+12
	v_dual_mov_b32 v0, 0x5c1 :: v_dual_mov_b32 v1, s0
	v_mov_b32_e32 v2, s1
	s_mov_b32 s32, 0
	s_getpc_b64 s[2:3]
	s_add_u32 s2, s2, __assert_fail@rel32@lo+4
	s_addc_u32 s3, s3, __assert_fail@rel32@hi+12
	s_delay_alu instid0(SALU_CYCLE_1)
	s_swappc_b64 s[30:31], s[2:3]
	.section	.rodata,"a",@progbits
	.p2align	6, 0x0
	.amdhsa_kernel _Z17wvSplitKQ_hf_sml_I6__halfN3c1015Float8_e4m3fnuzELi64ELi2ELi16ELi16ELi2ELi2EEviiiPKT0_S5_PT_PKfS9_ii
		.amdhsa_group_segment_fixed_size 0
		.amdhsa_private_segment_fixed_size 64
		.amdhsa_kernarg_size 320
		.amdhsa_user_sgpr_count 15
		.amdhsa_user_sgpr_dispatch_ptr 0
		.amdhsa_user_sgpr_queue_ptr 0
		.amdhsa_user_sgpr_kernarg_segment_ptr 1
		.amdhsa_user_sgpr_dispatch_id 0
		.amdhsa_user_sgpr_private_segment_size 0
		.amdhsa_wavefront_size32 1
		.amdhsa_uses_dynamic_stack 0
		.amdhsa_enable_private_segment 1
		.amdhsa_system_sgpr_workgroup_id_x 1
		.amdhsa_system_sgpr_workgroup_id_y 0
		.amdhsa_system_sgpr_workgroup_id_z 0
		.amdhsa_system_sgpr_workgroup_info 0
		.amdhsa_system_vgpr_workitem_id 0
		.amdhsa_next_free_vgpr 50
		.amdhsa_next_free_sgpr 34
		.amdhsa_reserve_vcc 1
		.amdhsa_float_round_mode_32 0
		.amdhsa_float_round_mode_16_64 0
		.amdhsa_float_denorm_mode_32 3
		.amdhsa_float_denorm_mode_16_64 3
		.amdhsa_dx10_clamp 1
		.amdhsa_ieee_mode 1
		.amdhsa_fp16_overflow 0
		.amdhsa_workgroup_processor_mode 1
		.amdhsa_memory_ordered 1
		.amdhsa_forward_progress 0
		.amdhsa_shared_vgpr_count 0
		.amdhsa_exception_fp_ieee_invalid_op 0
		.amdhsa_exception_fp_denorm_src 0
		.amdhsa_exception_fp_ieee_div_zero 0
		.amdhsa_exception_fp_ieee_overflow 0
		.amdhsa_exception_fp_ieee_underflow 0
		.amdhsa_exception_fp_ieee_inexact 0
		.amdhsa_exception_int_div_zero 0
	.end_amdhsa_kernel
	.section	.text._Z17wvSplitKQ_hf_sml_I6__halfN3c1015Float8_e4m3fnuzELi64ELi2ELi16ELi16ELi2ELi2EEviiiPKT0_S5_PT_PKfS9_ii,"axG",@progbits,_Z17wvSplitKQ_hf_sml_I6__halfN3c1015Float8_e4m3fnuzELi64ELi2ELi16ELi16ELi2ELi2EEviiiPKT0_S5_PT_PKfS9_ii,comdat
.Lfunc_end44:
	.size	_Z17wvSplitKQ_hf_sml_I6__halfN3c1015Float8_e4m3fnuzELi64ELi2ELi16ELi16ELi2ELi2EEviiiPKT0_S5_PT_PKfS9_ii, .Lfunc_end44-_Z17wvSplitKQ_hf_sml_I6__halfN3c1015Float8_e4m3fnuzELi64ELi2ELi16ELi16ELi2ELi2EEviiiPKT0_S5_PT_PKfS9_ii
                                        ; -- End function
	.section	.AMDGPU.csdata,"",@progbits
; Kernel info:
; codeLenInByte = 76
; NumSgprs: 36
; NumVgprs: 50
; ScratchSize: 64
; MemoryBound: 0
; FloatMode: 240
; IeeeMode: 1
; LDSByteSize: 0 bytes/workgroup (compile time only)
; SGPRBlocks: 4
; VGPRBlocks: 6
; NumSGPRsForWavesPerEU: 36
; NumVGPRsForWavesPerEU: 50
; Occupancy: 16
; WaveLimiterHint : 1
; COMPUTE_PGM_RSRC2:SCRATCH_EN: 1
; COMPUTE_PGM_RSRC2:USER_SGPR: 15
; COMPUTE_PGM_RSRC2:TRAP_HANDLER: 0
; COMPUTE_PGM_RSRC2:TGID_X_EN: 1
; COMPUTE_PGM_RSRC2:TGID_Y_EN: 0
; COMPUTE_PGM_RSRC2:TGID_Z_EN: 0
; COMPUTE_PGM_RSRC2:TIDIG_COMP_CNT: 0
	.section	.text._Z13wvSplitKQ_hf_I6__halfN3c1015Float8_e4m3fnuzELi64ELi2ELi16ELi16ELi2ELi2EEviiiPKT0_S5_PT_PKfS9_ii,"axG",@progbits,_Z13wvSplitKQ_hf_I6__halfN3c1015Float8_e4m3fnuzELi64ELi2ELi16ELi16ELi2ELi2EEviiiPKT0_S5_PT_PKfS9_ii,comdat
	.protected	_Z13wvSplitKQ_hf_I6__halfN3c1015Float8_e4m3fnuzELi64ELi2ELi16ELi16ELi2ELi2EEviiiPKT0_S5_PT_PKfS9_ii ; -- Begin function _Z13wvSplitKQ_hf_I6__halfN3c1015Float8_e4m3fnuzELi64ELi2ELi16ELi16ELi2ELi2EEviiiPKT0_S5_PT_PKfS9_ii
	.globl	_Z13wvSplitKQ_hf_I6__halfN3c1015Float8_e4m3fnuzELi64ELi2ELi16ELi16ELi2ELi2EEviiiPKT0_S5_PT_PKfS9_ii
	.p2align	8
	.type	_Z13wvSplitKQ_hf_I6__halfN3c1015Float8_e4m3fnuzELi64ELi2ELi16ELi16ELi2ELi2EEviiiPKT0_S5_PT_PKfS9_ii,@function
_Z13wvSplitKQ_hf_I6__halfN3c1015Float8_e4m3fnuzELi64ELi2ELi16ELi16ELi2ELi2EEviiiPKT0_S5_PT_PKfS9_ii: ; @_Z13wvSplitKQ_hf_I6__halfN3c1015Float8_e4m3fnuzELi64ELi2ELi16ELi16ELi2ELi2EEviiiPKT0_S5_PT_PKfS9_ii
; %bb.0:
	s_add_u32 s8, s0, 64
	s_addc_u32 s9, s1, 0
	s_getpc_b64 s[0:1]
	s_add_u32 s0, s0, __PRETTY_FUNCTION__._Z13wvSplitKQ_hf_I6__halfN3c1015Float8_e4m3fnuzELi64ELi2ELi16ELi16ELi2ELi2EEviiiPKT0_S5_PT_PKfS9_ii@rel32@lo+4
	s_addc_u32 s1, s1, __PRETTY_FUNCTION__._Z13wvSplitKQ_hf_I6__halfN3c1015Float8_e4m3fnuzELi64ELi2ELi16ELi16ELi2ELi2EEviiiPKT0_S5_PT_PKfS9_ii@rel32@hi+12
	v_dual_mov_b32 v0, 0x66e :: v_dual_mov_b32 v1, s0
	v_mov_b32_e32 v2, s1
	s_mov_b32 s32, 0
	s_getpc_b64 s[2:3]
	s_add_u32 s2, s2, __assert_fail@rel32@lo+4
	s_addc_u32 s3, s3, __assert_fail@rel32@hi+12
	s_delay_alu instid0(SALU_CYCLE_1)
	s_swappc_b64 s[30:31], s[2:3]
	.section	.rodata,"a",@progbits
	.p2align	6, 0x0
	.amdhsa_kernel _Z13wvSplitKQ_hf_I6__halfN3c1015Float8_e4m3fnuzELi64ELi2ELi16ELi16ELi2ELi2EEviiiPKT0_S5_PT_PKfS9_ii
		.amdhsa_group_segment_fixed_size 0
		.amdhsa_private_segment_fixed_size 64
		.amdhsa_kernarg_size 320
		.amdhsa_user_sgpr_count 15
		.amdhsa_user_sgpr_dispatch_ptr 0
		.amdhsa_user_sgpr_queue_ptr 0
		.amdhsa_user_sgpr_kernarg_segment_ptr 1
		.amdhsa_user_sgpr_dispatch_id 0
		.amdhsa_user_sgpr_private_segment_size 0
		.amdhsa_wavefront_size32 1
		.amdhsa_uses_dynamic_stack 0
		.amdhsa_enable_private_segment 1
		.amdhsa_system_sgpr_workgroup_id_x 1
		.amdhsa_system_sgpr_workgroup_id_y 0
		.amdhsa_system_sgpr_workgroup_id_z 0
		.amdhsa_system_sgpr_workgroup_info 0
		.amdhsa_system_vgpr_workitem_id 0
		.amdhsa_next_free_vgpr 50
		.amdhsa_next_free_sgpr 34
		.amdhsa_reserve_vcc 1
		.amdhsa_float_round_mode_32 0
		.amdhsa_float_round_mode_16_64 0
		.amdhsa_float_denorm_mode_32 3
		.amdhsa_float_denorm_mode_16_64 3
		.amdhsa_dx10_clamp 1
		.amdhsa_ieee_mode 1
		.amdhsa_fp16_overflow 0
		.amdhsa_workgroup_processor_mode 1
		.amdhsa_memory_ordered 1
		.amdhsa_forward_progress 0
		.amdhsa_shared_vgpr_count 0
		.amdhsa_exception_fp_ieee_invalid_op 0
		.amdhsa_exception_fp_denorm_src 0
		.amdhsa_exception_fp_ieee_div_zero 0
		.amdhsa_exception_fp_ieee_overflow 0
		.amdhsa_exception_fp_ieee_underflow 0
		.amdhsa_exception_fp_ieee_inexact 0
		.amdhsa_exception_int_div_zero 0
	.end_amdhsa_kernel
	.section	.text._Z13wvSplitKQ_hf_I6__halfN3c1015Float8_e4m3fnuzELi64ELi2ELi16ELi16ELi2ELi2EEviiiPKT0_S5_PT_PKfS9_ii,"axG",@progbits,_Z13wvSplitKQ_hf_I6__halfN3c1015Float8_e4m3fnuzELi64ELi2ELi16ELi16ELi2ELi2EEviiiPKT0_S5_PT_PKfS9_ii,comdat
.Lfunc_end45:
	.size	_Z13wvSplitKQ_hf_I6__halfN3c1015Float8_e4m3fnuzELi64ELi2ELi16ELi16ELi2ELi2EEviiiPKT0_S5_PT_PKfS9_ii, .Lfunc_end45-_Z13wvSplitKQ_hf_I6__halfN3c1015Float8_e4m3fnuzELi64ELi2ELi16ELi16ELi2ELi2EEviiiPKT0_S5_PT_PKfS9_ii
                                        ; -- End function
	.section	.AMDGPU.csdata,"",@progbits
; Kernel info:
; codeLenInByte = 76
; NumSgprs: 36
; NumVgprs: 50
; ScratchSize: 64
; MemoryBound: 0
; FloatMode: 240
; IeeeMode: 1
; LDSByteSize: 0 bytes/workgroup (compile time only)
; SGPRBlocks: 4
; VGPRBlocks: 6
; NumSGPRsForWavesPerEU: 36
; NumVGPRsForWavesPerEU: 50
; Occupancy: 16
; WaveLimiterHint : 1
; COMPUTE_PGM_RSRC2:SCRATCH_EN: 1
; COMPUTE_PGM_RSRC2:USER_SGPR: 15
; COMPUTE_PGM_RSRC2:TRAP_HANDLER: 0
; COMPUTE_PGM_RSRC2:TGID_X_EN: 1
; COMPUTE_PGM_RSRC2:TGID_Y_EN: 0
; COMPUTE_PGM_RSRC2:TGID_Z_EN: 0
; COMPUTE_PGM_RSRC2:TIDIG_COMP_CNT: 0
	.section	.text._Z17wvSplitKQ_hf_sml_I6__halfN3c1015Float8_e4m3fnuzELi64ELi4ELi16ELi16ELi1ELi3EEviiiPKT0_S5_PT_PKfS9_ii,"axG",@progbits,_Z17wvSplitKQ_hf_sml_I6__halfN3c1015Float8_e4m3fnuzELi64ELi4ELi16ELi16ELi1ELi3EEviiiPKT0_S5_PT_PKfS9_ii,comdat
	.protected	_Z17wvSplitKQ_hf_sml_I6__halfN3c1015Float8_e4m3fnuzELi64ELi4ELi16ELi16ELi1ELi3EEviiiPKT0_S5_PT_PKfS9_ii ; -- Begin function _Z17wvSplitKQ_hf_sml_I6__halfN3c1015Float8_e4m3fnuzELi64ELi4ELi16ELi16ELi1ELi3EEviiiPKT0_S5_PT_PKfS9_ii
	.globl	_Z17wvSplitKQ_hf_sml_I6__halfN3c1015Float8_e4m3fnuzELi64ELi4ELi16ELi16ELi1ELi3EEviiiPKT0_S5_PT_PKfS9_ii
	.p2align	8
	.type	_Z17wvSplitKQ_hf_sml_I6__halfN3c1015Float8_e4m3fnuzELi64ELi4ELi16ELi16ELi1ELi3EEviiiPKT0_S5_PT_PKfS9_ii,@function
_Z17wvSplitKQ_hf_sml_I6__halfN3c1015Float8_e4m3fnuzELi64ELi4ELi16ELi16ELi1ELi3EEviiiPKT0_S5_PT_PKfS9_ii: ; @_Z17wvSplitKQ_hf_sml_I6__halfN3c1015Float8_e4m3fnuzELi64ELi4ELi16ELi16ELi1ELi3EEviiiPKT0_S5_PT_PKfS9_ii
; %bb.0:
	s_add_u32 s8, s0, 64
	s_addc_u32 s9, s1, 0
	s_getpc_b64 s[0:1]
	s_add_u32 s0, s0, __PRETTY_FUNCTION__._Z17wvSplitKQ_hf_sml_I6__halfN3c1015Float8_e4m3fnuzELi64ELi4ELi16ELi16ELi1ELi3EEviiiPKT0_S5_PT_PKfS9_ii@rel32@lo+4
	s_addc_u32 s1, s1, __PRETTY_FUNCTION__._Z17wvSplitKQ_hf_sml_I6__halfN3c1015Float8_e4m3fnuzELi64ELi4ELi16ELi16ELi1ELi3EEviiiPKT0_S5_PT_PKfS9_ii@rel32@hi+12
	v_dual_mov_b32 v0, 0x5c1 :: v_dual_mov_b32 v1, s0
	v_mov_b32_e32 v2, s1
	s_mov_b32 s32, 0
	s_getpc_b64 s[2:3]
	s_add_u32 s2, s2, __assert_fail@rel32@lo+4
	s_addc_u32 s3, s3, __assert_fail@rel32@hi+12
	s_delay_alu instid0(SALU_CYCLE_1)
	s_swappc_b64 s[30:31], s[2:3]
	.section	.rodata,"a",@progbits
	.p2align	6, 0x0
	.amdhsa_kernel _Z17wvSplitKQ_hf_sml_I6__halfN3c1015Float8_e4m3fnuzELi64ELi4ELi16ELi16ELi1ELi3EEviiiPKT0_S5_PT_PKfS9_ii
		.amdhsa_group_segment_fixed_size 0
		.amdhsa_private_segment_fixed_size 64
		.amdhsa_kernarg_size 320
		.amdhsa_user_sgpr_count 15
		.amdhsa_user_sgpr_dispatch_ptr 0
		.amdhsa_user_sgpr_queue_ptr 0
		.amdhsa_user_sgpr_kernarg_segment_ptr 1
		.amdhsa_user_sgpr_dispatch_id 0
		.amdhsa_user_sgpr_private_segment_size 0
		.amdhsa_wavefront_size32 1
		.amdhsa_uses_dynamic_stack 0
		.amdhsa_enable_private_segment 1
		.amdhsa_system_sgpr_workgroup_id_x 1
		.amdhsa_system_sgpr_workgroup_id_y 0
		.amdhsa_system_sgpr_workgroup_id_z 0
		.amdhsa_system_sgpr_workgroup_info 0
		.amdhsa_system_vgpr_workitem_id 0
		.amdhsa_next_free_vgpr 50
		.amdhsa_next_free_sgpr 34
		.amdhsa_reserve_vcc 1
		.amdhsa_float_round_mode_32 0
		.amdhsa_float_round_mode_16_64 0
		.amdhsa_float_denorm_mode_32 3
		.amdhsa_float_denorm_mode_16_64 3
		.amdhsa_dx10_clamp 1
		.amdhsa_ieee_mode 1
		.amdhsa_fp16_overflow 0
		.amdhsa_workgroup_processor_mode 1
		.amdhsa_memory_ordered 1
		.amdhsa_forward_progress 0
		.amdhsa_shared_vgpr_count 0
		.amdhsa_exception_fp_ieee_invalid_op 0
		.amdhsa_exception_fp_denorm_src 0
		.amdhsa_exception_fp_ieee_div_zero 0
		.amdhsa_exception_fp_ieee_overflow 0
		.amdhsa_exception_fp_ieee_underflow 0
		.amdhsa_exception_fp_ieee_inexact 0
		.amdhsa_exception_int_div_zero 0
	.end_amdhsa_kernel
	.section	.text._Z17wvSplitKQ_hf_sml_I6__halfN3c1015Float8_e4m3fnuzELi64ELi4ELi16ELi16ELi1ELi3EEviiiPKT0_S5_PT_PKfS9_ii,"axG",@progbits,_Z17wvSplitKQ_hf_sml_I6__halfN3c1015Float8_e4m3fnuzELi64ELi4ELi16ELi16ELi1ELi3EEviiiPKT0_S5_PT_PKfS9_ii,comdat
.Lfunc_end46:
	.size	_Z17wvSplitKQ_hf_sml_I6__halfN3c1015Float8_e4m3fnuzELi64ELi4ELi16ELi16ELi1ELi3EEviiiPKT0_S5_PT_PKfS9_ii, .Lfunc_end46-_Z17wvSplitKQ_hf_sml_I6__halfN3c1015Float8_e4m3fnuzELi64ELi4ELi16ELi16ELi1ELi3EEviiiPKT0_S5_PT_PKfS9_ii
                                        ; -- End function
	.section	.AMDGPU.csdata,"",@progbits
; Kernel info:
; codeLenInByte = 76
; NumSgprs: 36
; NumVgprs: 50
; ScratchSize: 64
; MemoryBound: 0
; FloatMode: 240
; IeeeMode: 1
; LDSByteSize: 0 bytes/workgroup (compile time only)
; SGPRBlocks: 4
; VGPRBlocks: 6
; NumSGPRsForWavesPerEU: 36
; NumVGPRsForWavesPerEU: 50
; Occupancy: 16
; WaveLimiterHint : 1
; COMPUTE_PGM_RSRC2:SCRATCH_EN: 1
; COMPUTE_PGM_RSRC2:USER_SGPR: 15
; COMPUTE_PGM_RSRC2:TRAP_HANDLER: 0
; COMPUTE_PGM_RSRC2:TGID_X_EN: 1
; COMPUTE_PGM_RSRC2:TGID_Y_EN: 0
; COMPUTE_PGM_RSRC2:TGID_Z_EN: 0
; COMPUTE_PGM_RSRC2:TIDIG_COMP_CNT: 0
	.section	.text._Z13wvSplitKQ_hf_I6__halfN3c1015Float8_e4m3fnuzELi64ELi7ELi16ELi16ELi1ELi3EEviiiPKT0_S5_PT_PKfS9_ii,"axG",@progbits,_Z13wvSplitKQ_hf_I6__halfN3c1015Float8_e4m3fnuzELi64ELi7ELi16ELi16ELi1ELi3EEviiiPKT0_S5_PT_PKfS9_ii,comdat
	.protected	_Z13wvSplitKQ_hf_I6__halfN3c1015Float8_e4m3fnuzELi64ELi7ELi16ELi16ELi1ELi3EEviiiPKT0_S5_PT_PKfS9_ii ; -- Begin function _Z13wvSplitKQ_hf_I6__halfN3c1015Float8_e4m3fnuzELi64ELi7ELi16ELi16ELi1ELi3EEviiiPKT0_S5_PT_PKfS9_ii
	.globl	_Z13wvSplitKQ_hf_I6__halfN3c1015Float8_e4m3fnuzELi64ELi7ELi16ELi16ELi1ELi3EEviiiPKT0_S5_PT_PKfS9_ii
	.p2align	8
	.type	_Z13wvSplitKQ_hf_I6__halfN3c1015Float8_e4m3fnuzELi64ELi7ELi16ELi16ELi1ELi3EEviiiPKT0_S5_PT_PKfS9_ii,@function
_Z13wvSplitKQ_hf_I6__halfN3c1015Float8_e4m3fnuzELi64ELi7ELi16ELi16ELi1ELi3EEviiiPKT0_S5_PT_PKfS9_ii: ; @_Z13wvSplitKQ_hf_I6__halfN3c1015Float8_e4m3fnuzELi64ELi7ELi16ELi16ELi1ELi3EEviiiPKT0_S5_PT_PKfS9_ii
; %bb.0:
	s_add_u32 s8, s0, 64
	s_addc_u32 s9, s1, 0
	s_getpc_b64 s[0:1]
	s_add_u32 s0, s0, __PRETTY_FUNCTION__._Z13wvSplitKQ_hf_I6__halfN3c1015Float8_e4m3fnuzELi64ELi7ELi16ELi16ELi1ELi3EEviiiPKT0_S5_PT_PKfS9_ii@rel32@lo+4
	s_addc_u32 s1, s1, __PRETTY_FUNCTION__._Z13wvSplitKQ_hf_I6__halfN3c1015Float8_e4m3fnuzELi64ELi7ELi16ELi16ELi1ELi3EEviiiPKT0_S5_PT_PKfS9_ii@rel32@hi+12
	v_dual_mov_b32 v0, 0x66e :: v_dual_mov_b32 v1, s0
	v_mov_b32_e32 v2, s1
	s_mov_b32 s32, 0
	s_getpc_b64 s[2:3]
	s_add_u32 s2, s2, __assert_fail@rel32@lo+4
	s_addc_u32 s3, s3, __assert_fail@rel32@hi+12
	s_delay_alu instid0(SALU_CYCLE_1)
	s_swappc_b64 s[30:31], s[2:3]
	.section	.rodata,"a",@progbits
	.p2align	6, 0x0
	.amdhsa_kernel _Z13wvSplitKQ_hf_I6__halfN3c1015Float8_e4m3fnuzELi64ELi7ELi16ELi16ELi1ELi3EEviiiPKT0_S5_PT_PKfS9_ii
		.amdhsa_group_segment_fixed_size 0
		.amdhsa_private_segment_fixed_size 64
		.amdhsa_kernarg_size 320
		.amdhsa_user_sgpr_count 15
		.amdhsa_user_sgpr_dispatch_ptr 0
		.amdhsa_user_sgpr_queue_ptr 0
		.amdhsa_user_sgpr_kernarg_segment_ptr 1
		.amdhsa_user_sgpr_dispatch_id 0
		.amdhsa_user_sgpr_private_segment_size 0
		.amdhsa_wavefront_size32 1
		.amdhsa_uses_dynamic_stack 0
		.amdhsa_enable_private_segment 1
		.amdhsa_system_sgpr_workgroup_id_x 1
		.amdhsa_system_sgpr_workgroup_id_y 0
		.amdhsa_system_sgpr_workgroup_id_z 0
		.amdhsa_system_sgpr_workgroup_info 0
		.amdhsa_system_vgpr_workitem_id 0
		.amdhsa_next_free_vgpr 50
		.amdhsa_next_free_sgpr 34
		.amdhsa_reserve_vcc 1
		.amdhsa_float_round_mode_32 0
		.amdhsa_float_round_mode_16_64 0
		.amdhsa_float_denorm_mode_32 3
		.amdhsa_float_denorm_mode_16_64 3
		.amdhsa_dx10_clamp 1
		.amdhsa_ieee_mode 1
		.amdhsa_fp16_overflow 0
		.amdhsa_workgroup_processor_mode 1
		.amdhsa_memory_ordered 1
		.amdhsa_forward_progress 0
		.amdhsa_shared_vgpr_count 0
		.amdhsa_exception_fp_ieee_invalid_op 0
		.amdhsa_exception_fp_denorm_src 0
		.amdhsa_exception_fp_ieee_div_zero 0
		.amdhsa_exception_fp_ieee_overflow 0
		.amdhsa_exception_fp_ieee_underflow 0
		.amdhsa_exception_fp_ieee_inexact 0
		.amdhsa_exception_int_div_zero 0
	.end_amdhsa_kernel
	.section	.text._Z13wvSplitKQ_hf_I6__halfN3c1015Float8_e4m3fnuzELi64ELi7ELi16ELi16ELi1ELi3EEviiiPKT0_S5_PT_PKfS9_ii,"axG",@progbits,_Z13wvSplitKQ_hf_I6__halfN3c1015Float8_e4m3fnuzELi64ELi7ELi16ELi16ELi1ELi3EEviiiPKT0_S5_PT_PKfS9_ii,comdat
.Lfunc_end47:
	.size	_Z13wvSplitKQ_hf_I6__halfN3c1015Float8_e4m3fnuzELi64ELi7ELi16ELi16ELi1ELi3EEviiiPKT0_S5_PT_PKfS9_ii, .Lfunc_end47-_Z13wvSplitKQ_hf_I6__halfN3c1015Float8_e4m3fnuzELi64ELi7ELi16ELi16ELi1ELi3EEviiiPKT0_S5_PT_PKfS9_ii
                                        ; -- End function
	.section	.AMDGPU.csdata,"",@progbits
; Kernel info:
; codeLenInByte = 76
; NumSgprs: 36
; NumVgprs: 50
; ScratchSize: 64
; MemoryBound: 0
; FloatMode: 240
; IeeeMode: 1
; LDSByteSize: 0 bytes/workgroup (compile time only)
; SGPRBlocks: 4
; VGPRBlocks: 6
; NumSGPRsForWavesPerEU: 36
; NumVGPRsForWavesPerEU: 50
; Occupancy: 16
; WaveLimiterHint : 1
; COMPUTE_PGM_RSRC2:SCRATCH_EN: 1
; COMPUTE_PGM_RSRC2:USER_SGPR: 15
; COMPUTE_PGM_RSRC2:TRAP_HANDLER: 0
; COMPUTE_PGM_RSRC2:TGID_X_EN: 1
; COMPUTE_PGM_RSRC2:TGID_Y_EN: 0
; COMPUTE_PGM_RSRC2:TGID_Z_EN: 0
; COMPUTE_PGM_RSRC2:TIDIG_COMP_CNT: 0
	.section	.text._Z17wvSplitKQ_hf_sml_I6__halfN3c1015Float8_e4m3fnuzELi64ELi4ELi16ELi16ELi1ELi4EEviiiPKT0_S5_PT_PKfS9_ii,"axG",@progbits,_Z17wvSplitKQ_hf_sml_I6__halfN3c1015Float8_e4m3fnuzELi64ELi4ELi16ELi16ELi1ELi4EEviiiPKT0_S5_PT_PKfS9_ii,comdat
	.protected	_Z17wvSplitKQ_hf_sml_I6__halfN3c1015Float8_e4m3fnuzELi64ELi4ELi16ELi16ELi1ELi4EEviiiPKT0_S5_PT_PKfS9_ii ; -- Begin function _Z17wvSplitKQ_hf_sml_I6__halfN3c1015Float8_e4m3fnuzELi64ELi4ELi16ELi16ELi1ELi4EEviiiPKT0_S5_PT_PKfS9_ii
	.globl	_Z17wvSplitKQ_hf_sml_I6__halfN3c1015Float8_e4m3fnuzELi64ELi4ELi16ELi16ELi1ELi4EEviiiPKT0_S5_PT_PKfS9_ii
	.p2align	8
	.type	_Z17wvSplitKQ_hf_sml_I6__halfN3c1015Float8_e4m3fnuzELi64ELi4ELi16ELi16ELi1ELi4EEviiiPKT0_S5_PT_PKfS9_ii,@function
_Z17wvSplitKQ_hf_sml_I6__halfN3c1015Float8_e4m3fnuzELi64ELi4ELi16ELi16ELi1ELi4EEviiiPKT0_S5_PT_PKfS9_ii: ; @_Z17wvSplitKQ_hf_sml_I6__halfN3c1015Float8_e4m3fnuzELi64ELi4ELi16ELi16ELi1ELi4EEviiiPKT0_S5_PT_PKfS9_ii
; %bb.0:
	s_add_u32 s8, s0, 64
	s_addc_u32 s9, s1, 0
	s_getpc_b64 s[0:1]
	s_add_u32 s0, s0, __PRETTY_FUNCTION__._Z17wvSplitKQ_hf_sml_I6__halfN3c1015Float8_e4m3fnuzELi64ELi4ELi16ELi16ELi1ELi4EEviiiPKT0_S5_PT_PKfS9_ii@rel32@lo+4
	s_addc_u32 s1, s1, __PRETTY_FUNCTION__._Z17wvSplitKQ_hf_sml_I6__halfN3c1015Float8_e4m3fnuzELi64ELi4ELi16ELi16ELi1ELi4EEviiiPKT0_S5_PT_PKfS9_ii@rel32@hi+12
	v_dual_mov_b32 v0, 0x5c1 :: v_dual_mov_b32 v1, s0
	v_mov_b32_e32 v2, s1
	s_mov_b32 s32, 0
	s_getpc_b64 s[2:3]
	s_add_u32 s2, s2, __assert_fail@rel32@lo+4
	s_addc_u32 s3, s3, __assert_fail@rel32@hi+12
	s_delay_alu instid0(SALU_CYCLE_1)
	s_swappc_b64 s[30:31], s[2:3]
	.section	.rodata,"a",@progbits
	.p2align	6, 0x0
	.amdhsa_kernel _Z17wvSplitKQ_hf_sml_I6__halfN3c1015Float8_e4m3fnuzELi64ELi4ELi16ELi16ELi1ELi4EEviiiPKT0_S5_PT_PKfS9_ii
		.amdhsa_group_segment_fixed_size 0
		.amdhsa_private_segment_fixed_size 64
		.amdhsa_kernarg_size 320
		.amdhsa_user_sgpr_count 15
		.amdhsa_user_sgpr_dispatch_ptr 0
		.amdhsa_user_sgpr_queue_ptr 0
		.amdhsa_user_sgpr_kernarg_segment_ptr 1
		.amdhsa_user_sgpr_dispatch_id 0
		.amdhsa_user_sgpr_private_segment_size 0
		.amdhsa_wavefront_size32 1
		.amdhsa_uses_dynamic_stack 0
		.amdhsa_enable_private_segment 1
		.amdhsa_system_sgpr_workgroup_id_x 1
		.amdhsa_system_sgpr_workgroup_id_y 0
		.amdhsa_system_sgpr_workgroup_id_z 0
		.amdhsa_system_sgpr_workgroup_info 0
		.amdhsa_system_vgpr_workitem_id 0
		.amdhsa_next_free_vgpr 50
		.amdhsa_next_free_sgpr 34
		.amdhsa_reserve_vcc 1
		.amdhsa_float_round_mode_32 0
		.amdhsa_float_round_mode_16_64 0
		.amdhsa_float_denorm_mode_32 3
		.amdhsa_float_denorm_mode_16_64 3
		.amdhsa_dx10_clamp 1
		.amdhsa_ieee_mode 1
		.amdhsa_fp16_overflow 0
		.amdhsa_workgroup_processor_mode 1
		.amdhsa_memory_ordered 1
		.amdhsa_forward_progress 0
		.amdhsa_shared_vgpr_count 0
		.amdhsa_exception_fp_ieee_invalid_op 0
		.amdhsa_exception_fp_denorm_src 0
		.amdhsa_exception_fp_ieee_div_zero 0
		.amdhsa_exception_fp_ieee_overflow 0
		.amdhsa_exception_fp_ieee_underflow 0
		.amdhsa_exception_fp_ieee_inexact 0
		.amdhsa_exception_int_div_zero 0
	.end_amdhsa_kernel
	.section	.text._Z17wvSplitKQ_hf_sml_I6__halfN3c1015Float8_e4m3fnuzELi64ELi4ELi16ELi16ELi1ELi4EEviiiPKT0_S5_PT_PKfS9_ii,"axG",@progbits,_Z17wvSplitKQ_hf_sml_I6__halfN3c1015Float8_e4m3fnuzELi64ELi4ELi16ELi16ELi1ELi4EEviiiPKT0_S5_PT_PKfS9_ii,comdat
.Lfunc_end48:
	.size	_Z17wvSplitKQ_hf_sml_I6__halfN3c1015Float8_e4m3fnuzELi64ELi4ELi16ELi16ELi1ELi4EEviiiPKT0_S5_PT_PKfS9_ii, .Lfunc_end48-_Z17wvSplitKQ_hf_sml_I6__halfN3c1015Float8_e4m3fnuzELi64ELi4ELi16ELi16ELi1ELi4EEviiiPKT0_S5_PT_PKfS9_ii
                                        ; -- End function
	.section	.AMDGPU.csdata,"",@progbits
; Kernel info:
; codeLenInByte = 76
; NumSgprs: 36
; NumVgprs: 50
; ScratchSize: 64
; MemoryBound: 0
; FloatMode: 240
; IeeeMode: 1
; LDSByteSize: 0 bytes/workgroup (compile time only)
; SGPRBlocks: 4
; VGPRBlocks: 6
; NumSGPRsForWavesPerEU: 36
; NumVGPRsForWavesPerEU: 50
; Occupancy: 16
; WaveLimiterHint : 1
; COMPUTE_PGM_RSRC2:SCRATCH_EN: 1
; COMPUTE_PGM_RSRC2:USER_SGPR: 15
; COMPUTE_PGM_RSRC2:TRAP_HANDLER: 0
; COMPUTE_PGM_RSRC2:TGID_X_EN: 1
; COMPUTE_PGM_RSRC2:TGID_Y_EN: 0
; COMPUTE_PGM_RSRC2:TGID_Z_EN: 0
; COMPUTE_PGM_RSRC2:TIDIG_COMP_CNT: 0
	.section	.text._Z13wvSplitKQ_hf_I6__halfN3c1015Float8_e4m3fnuzELi64ELi7ELi16ELi16ELi1ELi4EEviiiPKT0_S5_PT_PKfS9_ii,"axG",@progbits,_Z13wvSplitKQ_hf_I6__halfN3c1015Float8_e4m3fnuzELi64ELi7ELi16ELi16ELi1ELi4EEviiiPKT0_S5_PT_PKfS9_ii,comdat
	.protected	_Z13wvSplitKQ_hf_I6__halfN3c1015Float8_e4m3fnuzELi64ELi7ELi16ELi16ELi1ELi4EEviiiPKT0_S5_PT_PKfS9_ii ; -- Begin function _Z13wvSplitKQ_hf_I6__halfN3c1015Float8_e4m3fnuzELi64ELi7ELi16ELi16ELi1ELi4EEviiiPKT0_S5_PT_PKfS9_ii
	.globl	_Z13wvSplitKQ_hf_I6__halfN3c1015Float8_e4m3fnuzELi64ELi7ELi16ELi16ELi1ELi4EEviiiPKT0_S5_PT_PKfS9_ii
	.p2align	8
	.type	_Z13wvSplitKQ_hf_I6__halfN3c1015Float8_e4m3fnuzELi64ELi7ELi16ELi16ELi1ELi4EEviiiPKT0_S5_PT_PKfS9_ii,@function
_Z13wvSplitKQ_hf_I6__halfN3c1015Float8_e4m3fnuzELi64ELi7ELi16ELi16ELi1ELi4EEviiiPKT0_S5_PT_PKfS9_ii: ; @_Z13wvSplitKQ_hf_I6__halfN3c1015Float8_e4m3fnuzELi64ELi7ELi16ELi16ELi1ELi4EEviiiPKT0_S5_PT_PKfS9_ii
; %bb.0:
	s_add_u32 s8, s0, 64
	s_addc_u32 s9, s1, 0
	s_getpc_b64 s[0:1]
	s_add_u32 s0, s0, __PRETTY_FUNCTION__._Z13wvSplitKQ_hf_I6__halfN3c1015Float8_e4m3fnuzELi64ELi7ELi16ELi16ELi1ELi4EEviiiPKT0_S5_PT_PKfS9_ii@rel32@lo+4
	s_addc_u32 s1, s1, __PRETTY_FUNCTION__._Z13wvSplitKQ_hf_I6__halfN3c1015Float8_e4m3fnuzELi64ELi7ELi16ELi16ELi1ELi4EEviiiPKT0_S5_PT_PKfS9_ii@rel32@hi+12
	v_dual_mov_b32 v0, 0x66e :: v_dual_mov_b32 v1, s0
	v_mov_b32_e32 v2, s1
	s_mov_b32 s32, 0
	s_getpc_b64 s[2:3]
	s_add_u32 s2, s2, __assert_fail@rel32@lo+4
	s_addc_u32 s3, s3, __assert_fail@rel32@hi+12
	s_delay_alu instid0(SALU_CYCLE_1)
	s_swappc_b64 s[30:31], s[2:3]
	.section	.rodata,"a",@progbits
	.p2align	6, 0x0
	.amdhsa_kernel _Z13wvSplitKQ_hf_I6__halfN3c1015Float8_e4m3fnuzELi64ELi7ELi16ELi16ELi1ELi4EEviiiPKT0_S5_PT_PKfS9_ii
		.amdhsa_group_segment_fixed_size 0
		.amdhsa_private_segment_fixed_size 64
		.amdhsa_kernarg_size 320
		.amdhsa_user_sgpr_count 15
		.amdhsa_user_sgpr_dispatch_ptr 0
		.amdhsa_user_sgpr_queue_ptr 0
		.amdhsa_user_sgpr_kernarg_segment_ptr 1
		.amdhsa_user_sgpr_dispatch_id 0
		.amdhsa_user_sgpr_private_segment_size 0
		.amdhsa_wavefront_size32 1
		.amdhsa_uses_dynamic_stack 0
		.amdhsa_enable_private_segment 1
		.amdhsa_system_sgpr_workgroup_id_x 1
		.amdhsa_system_sgpr_workgroup_id_y 0
		.amdhsa_system_sgpr_workgroup_id_z 0
		.amdhsa_system_sgpr_workgroup_info 0
		.amdhsa_system_vgpr_workitem_id 0
		.amdhsa_next_free_vgpr 50
		.amdhsa_next_free_sgpr 34
		.amdhsa_reserve_vcc 1
		.amdhsa_float_round_mode_32 0
		.amdhsa_float_round_mode_16_64 0
		.amdhsa_float_denorm_mode_32 3
		.amdhsa_float_denorm_mode_16_64 3
		.amdhsa_dx10_clamp 1
		.amdhsa_ieee_mode 1
		.amdhsa_fp16_overflow 0
		.amdhsa_workgroup_processor_mode 1
		.amdhsa_memory_ordered 1
		.amdhsa_forward_progress 0
		.amdhsa_shared_vgpr_count 0
		.amdhsa_exception_fp_ieee_invalid_op 0
		.amdhsa_exception_fp_denorm_src 0
		.amdhsa_exception_fp_ieee_div_zero 0
		.amdhsa_exception_fp_ieee_overflow 0
		.amdhsa_exception_fp_ieee_underflow 0
		.amdhsa_exception_fp_ieee_inexact 0
		.amdhsa_exception_int_div_zero 0
	.end_amdhsa_kernel
	.section	.text._Z13wvSplitKQ_hf_I6__halfN3c1015Float8_e4m3fnuzELi64ELi7ELi16ELi16ELi1ELi4EEviiiPKT0_S5_PT_PKfS9_ii,"axG",@progbits,_Z13wvSplitKQ_hf_I6__halfN3c1015Float8_e4m3fnuzELi64ELi7ELi16ELi16ELi1ELi4EEviiiPKT0_S5_PT_PKfS9_ii,comdat
.Lfunc_end49:
	.size	_Z13wvSplitKQ_hf_I6__halfN3c1015Float8_e4m3fnuzELi64ELi7ELi16ELi16ELi1ELi4EEviiiPKT0_S5_PT_PKfS9_ii, .Lfunc_end49-_Z13wvSplitKQ_hf_I6__halfN3c1015Float8_e4m3fnuzELi64ELi7ELi16ELi16ELi1ELi4EEviiiPKT0_S5_PT_PKfS9_ii
                                        ; -- End function
	.section	.AMDGPU.csdata,"",@progbits
; Kernel info:
; codeLenInByte = 76
; NumSgprs: 36
; NumVgprs: 50
; ScratchSize: 64
; MemoryBound: 0
; FloatMode: 240
; IeeeMode: 1
; LDSByteSize: 0 bytes/workgroup (compile time only)
; SGPRBlocks: 4
; VGPRBlocks: 6
; NumSGPRsForWavesPerEU: 36
; NumVGPRsForWavesPerEU: 50
; Occupancy: 16
; WaveLimiterHint : 1
; COMPUTE_PGM_RSRC2:SCRATCH_EN: 1
; COMPUTE_PGM_RSRC2:USER_SGPR: 15
; COMPUTE_PGM_RSRC2:TRAP_HANDLER: 0
; COMPUTE_PGM_RSRC2:TGID_X_EN: 1
; COMPUTE_PGM_RSRC2:TGID_Y_EN: 0
; COMPUTE_PGM_RSRC2:TGID_Z_EN: 0
; COMPUTE_PGM_RSRC2:TIDIG_COMP_CNT: 0
	.section	.text._Z17wvSplitKQ_hf_sml_I14__hip_bfloat16N3c1013Float8_e4m3fnELi64ELi2ELi16ELi16ELi2ELi1EEviiiPKT0_S5_PT_PKfS9_ii,"axG",@progbits,_Z17wvSplitKQ_hf_sml_I14__hip_bfloat16N3c1013Float8_e4m3fnELi64ELi2ELi16ELi16ELi2ELi1EEviiiPKT0_S5_PT_PKfS9_ii,comdat
	.protected	_Z17wvSplitKQ_hf_sml_I14__hip_bfloat16N3c1013Float8_e4m3fnELi64ELi2ELi16ELi16ELi2ELi1EEviiiPKT0_S5_PT_PKfS9_ii ; -- Begin function _Z17wvSplitKQ_hf_sml_I14__hip_bfloat16N3c1013Float8_e4m3fnELi64ELi2ELi16ELi16ELi2ELi1EEviiiPKT0_S5_PT_PKfS9_ii
	.globl	_Z17wvSplitKQ_hf_sml_I14__hip_bfloat16N3c1013Float8_e4m3fnELi64ELi2ELi16ELi16ELi2ELi1EEviiiPKT0_S5_PT_PKfS9_ii
	.p2align	8
	.type	_Z17wvSplitKQ_hf_sml_I14__hip_bfloat16N3c1013Float8_e4m3fnELi64ELi2ELi16ELi16ELi2ELi1EEviiiPKT0_S5_PT_PKfS9_ii,@function
_Z17wvSplitKQ_hf_sml_I14__hip_bfloat16N3c1013Float8_e4m3fnELi64ELi2ELi16ELi16ELi2ELi1EEviiiPKT0_S5_PT_PKfS9_ii: ; @_Z17wvSplitKQ_hf_sml_I14__hip_bfloat16N3c1013Float8_e4m3fnELi64ELi2ELi16ELi16ELi2ELi1EEviiiPKT0_S5_PT_PKfS9_ii
; %bb.0:
	s_add_u32 s8, s0, 64
	s_addc_u32 s9, s1, 0
	s_getpc_b64 s[0:1]
	s_add_u32 s0, s0, __PRETTY_FUNCTION__._Z17wvSplitKQ_hf_sml_I14__hip_bfloat16N3c1013Float8_e4m3fnELi64ELi2ELi16ELi16ELi2ELi1EEviiiPKT0_S5_PT_PKfS9_ii@rel32@lo+4
	s_addc_u32 s1, s1, __PRETTY_FUNCTION__._Z17wvSplitKQ_hf_sml_I14__hip_bfloat16N3c1013Float8_e4m3fnELi64ELi2ELi16ELi16ELi2ELi1EEviiiPKT0_S5_PT_PKfS9_ii@rel32@hi+12
	v_dual_mov_b32 v0, 0x5c1 :: v_dual_mov_b32 v1, s0
	v_mov_b32_e32 v2, s1
	s_mov_b32 s32, 0
	s_getpc_b64 s[2:3]
	s_add_u32 s2, s2, __assert_fail@rel32@lo+4
	s_addc_u32 s3, s3, __assert_fail@rel32@hi+12
	s_delay_alu instid0(SALU_CYCLE_1)
	s_swappc_b64 s[30:31], s[2:3]
	.section	.rodata,"a",@progbits
	.p2align	6, 0x0
	.amdhsa_kernel _Z17wvSplitKQ_hf_sml_I14__hip_bfloat16N3c1013Float8_e4m3fnELi64ELi2ELi16ELi16ELi2ELi1EEviiiPKT0_S5_PT_PKfS9_ii
		.amdhsa_group_segment_fixed_size 0
		.amdhsa_private_segment_fixed_size 64
		.amdhsa_kernarg_size 320
		.amdhsa_user_sgpr_count 15
		.amdhsa_user_sgpr_dispatch_ptr 0
		.amdhsa_user_sgpr_queue_ptr 0
		.amdhsa_user_sgpr_kernarg_segment_ptr 1
		.amdhsa_user_sgpr_dispatch_id 0
		.amdhsa_user_sgpr_private_segment_size 0
		.amdhsa_wavefront_size32 1
		.amdhsa_uses_dynamic_stack 0
		.amdhsa_enable_private_segment 1
		.amdhsa_system_sgpr_workgroup_id_x 1
		.amdhsa_system_sgpr_workgroup_id_y 0
		.amdhsa_system_sgpr_workgroup_id_z 0
		.amdhsa_system_sgpr_workgroup_info 0
		.amdhsa_system_vgpr_workitem_id 0
		.amdhsa_next_free_vgpr 50
		.amdhsa_next_free_sgpr 34
		.amdhsa_reserve_vcc 1
		.amdhsa_float_round_mode_32 0
		.amdhsa_float_round_mode_16_64 0
		.amdhsa_float_denorm_mode_32 3
		.amdhsa_float_denorm_mode_16_64 3
		.amdhsa_dx10_clamp 1
		.amdhsa_ieee_mode 1
		.amdhsa_fp16_overflow 0
		.amdhsa_workgroup_processor_mode 1
		.amdhsa_memory_ordered 1
		.amdhsa_forward_progress 0
		.amdhsa_shared_vgpr_count 0
		.amdhsa_exception_fp_ieee_invalid_op 0
		.amdhsa_exception_fp_denorm_src 0
		.amdhsa_exception_fp_ieee_div_zero 0
		.amdhsa_exception_fp_ieee_overflow 0
		.amdhsa_exception_fp_ieee_underflow 0
		.amdhsa_exception_fp_ieee_inexact 0
		.amdhsa_exception_int_div_zero 0
	.end_amdhsa_kernel
	.section	.text._Z17wvSplitKQ_hf_sml_I14__hip_bfloat16N3c1013Float8_e4m3fnELi64ELi2ELi16ELi16ELi2ELi1EEviiiPKT0_S5_PT_PKfS9_ii,"axG",@progbits,_Z17wvSplitKQ_hf_sml_I14__hip_bfloat16N3c1013Float8_e4m3fnELi64ELi2ELi16ELi16ELi2ELi1EEviiiPKT0_S5_PT_PKfS9_ii,comdat
.Lfunc_end50:
	.size	_Z17wvSplitKQ_hf_sml_I14__hip_bfloat16N3c1013Float8_e4m3fnELi64ELi2ELi16ELi16ELi2ELi1EEviiiPKT0_S5_PT_PKfS9_ii, .Lfunc_end50-_Z17wvSplitKQ_hf_sml_I14__hip_bfloat16N3c1013Float8_e4m3fnELi64ELi2ELi16ELi16ELi2ELi1EEviiiPKT0_S5_PT_PKfS9_ii
                                        ; -- End function
	.section	.AMDGPU.csdata,"",@progbits
; Kernel info:
; codeLenInByte = 76
; NumSgprs: 36
; NumVgprs: 50
; ScratchSize: 64
; MemoryBound: 0
; FloatMode: 240
; IeeeMode: 1
; LDSByteSize: 0 bytes/workgroup (compile time only)
; SGPRBlocks: 4
; VGPRBlocks: 6
; NumSGPRsForWavesPerEU: 36
; NumVGPRsForWavesPerEU: 50
; Occupancy: 16
; WaveLimiterHint : 1
; COMPUTE_PGM_RSRC2:SCRATCH_EN: 1
; COMPUTE_PGM_RSRC2:USER_SGPR: 15
; COMPUTE_PGM_RSRC2:TRAP_HANDLER: 0
; COMPUTE_PGM_RSRC2:TGID_X_EN: 1
; COMPUTE_PGM_RSRC2:TGID_Y_EN: 0
; COMPUTE_PGM_RSRC2:TGID_Z_EN: 0
; COMPUTE_PGM_RSRC2:TIDIG_COMP_CNT: 0
	.section	.text._Z13wvSplitKQ_hf_I14__hip_bfloat16N3c1013Float8_e4m3fnELi64ELi2ELi16ELi16ELi2ELi1EEviiiPKT0_S5_PT_PKfS9_ii,"axG",@progbits,_Z13wvSplitKQ_hf_I14__hip_bfloat16N3c1013Float8_e4m3fnELi64ELi2ELi16ELi16ELi2ELi1EEviiiPKT0_S5_PT_PKfS9_ii,comdat
	.protected	_Z13wvSplitKQ_hf_I14__hip_bfloat16N3c1013Float8_e4m3fnELi64ELi2ELi16ELi16ELi2ELi1EEviiiPKT0_S5_PT_PKfS9_ii ; -- Begin function _Z13wvSplitKQ_hf_I14__hip_bfloat16N3c1013Float8_e4m3fnELi64ELi2ELi16ELi16ELi2ELi1EEviiiPKT0_S5_PT_PKfS9_ii
	.globl	_Z13wvSplitKQ_hf_I14__hip_bfloat16N3c1013Float8_e4m3fnELi64ELi2ELi16ELi16ELi2ELi1EEviiiPKT0_S5_PT_PKfS9_ii
	.p2align	8
	.type	_Z13wvSplitKQ_hf_I14__hip_bfloat16N3c1013Float8_e4m3fnELi64ELi2ELi16ELi16ELi2ELi1EEviiiPKT0_S5_PT_PKfS9_ii,@function
_Z13wvSplitKQ_hf_I14__hip_bfloat16N3c1013Float8_e4m3fnELi64ELi2ELi16ELi16ELi2ELi1EEviiiPKT0_S5_PT_PKfS9_ii: ; @_Z13wvSplitKQ_hf_I14__hip_bfloat16N3c1013Float8_e4m3fnELi64ELi2ELi16ELi16ELi2ELi1EEviiiPKT0_S5_PT_PKfS9_ii
; %bb.0:
	s_add_u32 s8, s0, 64
	s_addc_u32 s9, s1, 0
	s_getpc_b64 s[0:1]
	s_add_u32 s0, s0, __PRETTY_FUNCTION__._Z13wvSplitKQ_hf_I14__hip_bfloat16N3c1013Float8_e4m3fnELi64ELi2ELi16ELi16ELi2ELi1EEviiiPKT0_S5_PT_PKfS9_ii@rel32@lo+4
	s_addc_u32 s1, s1, __PRETTY_FUNCTION__._Z13wvSplitKQ_hf_I14__hip_bfloat16N3c1013Float8_e4m3fnELi64ELi2ELi16ELi16ELi2ELi1EEviiiPKT0_S5_PT_PKfS9_ii@rel32@hi+12
	v_dual_mov_b32 v0, 0x66e :: v_dual_mov_b32 v1, s0
	v_mov_b32_e32 v2, s1
	s_mov_b32 s32, 0
	s_getpc_b64 s[2:3]
	s_add_u32 s2, s2, __assert_fail@rel32@lo+4
	s_addc_u32 s3, s3, __assert_fail@rel32@hi+12
	s_delay_alu instid0(SALU_CYCLE_1)
	s_swappc_b64 s[30:31], s[2:3]
	.section	.rodata,"a",@progbits
	.p2align	6, 0x0
	.amdhsa_kernel _Z13wvSplitKQ_hf_I14__hip_bfloat16N3c1013Float8_e4m3fnELi64ELi2ELi16ELi16ELi2ELi1EEviiiPKT0_S5_PT_PKfS9_ii
		.amdhsa_group_segment_fixed_size 0
		.amdhsa_private_segment_fixed_size 64
		.amdhsa_kernarg_size 320
		.amdhsa_user_sgpr_count 15
		.amdhsa_user_sgpr_dispatch_ptr 0
		.amdhsa_user_sgpr_queue_ptr 0
		.amdhsa_user_sgpr_kernarg_segment_ptr 1
		.amdhsa_user_sgpr_dispatch_id 0
		.amdhsa_user_sgpr_private_segment_size 0
		.amdhsa_wavefront_size32 1
		.amdhsa_uses_dynamic_stack 0
		.amdhsa_enable_private_segment 1
		.amdhsa_system_sgpr_workgroup_id_x 1
		.amdhsa_system_sgpr_workgroup_id_y 0
		.amdhsa_system_sgpr_workgroup_id_z 0
		.amdhsa_system_sgpr_workgroup_info 0
		.amdhsa_system_vgpr_workitem_id 0
		.amdhsa_next_free_vgpr 50
		.amdhsa_next_free_sgpr 34
		.amdhsa_reserve_vcc 1
		.amdhsa_float_round_mode_32 0
		.amdhsa_float_round_mode_16_64 0
		.amdhsa_float_denorm_mode_32 3
		.amdhsa_float_denorm_mode_16_64 3
		.amdhsa_dx10_clamp 1
		.amdhsa_ieee_mode 1
		.amdhsa_fp16_overflow 0
		.amdhsa_workgroup_processor_mode 1
		.amdhsa_memory_ordered 1
		.amdhsa_forward_progress 0
		.amdhsa_shared_vgpr_count 0
		.amdhsa_exception_fp_ieee_invalid_op 0
		.amdhsa_exception_fp_denorm_src 0
		.amdhsa_exception_fp_ieee_div_zero 0
		.amdhsa_exception_fp_ieee_overflow 0
		.amdhsa_exception_fp_ieee_underflow 0
		.amdhsa_exception_fp_ieee_inexact 0
		.amdhsa_exception_int_div_zero 0
	.end_amdhsa_kernel
	.section	.text._Z13wvSplitKQ_hf_I14__hip_bfloat16N3c1013Float8_e4m3fnELi64ELi2ELi16ELi16ELi2ELi1EEviiiPKT0_S5_PT_PKfS9_ii,"axG",@progbits,_Z13wvSplitKQ_hf_I14__hip_bfloat16N3c1013Float8_e4m3fnELi64ELi2ELi16ELi16ELi2ELi1EEviiiPKT0_S5_PT_PKfS9_ii,comdat
.Lfunc_end51:
	.size	_Z13wvSplitKQ_hf_I14__hip_bfloat16N3c1013Float8_e4m3fnELi64ELi2ELi16ELi16ELi2ELi1EEviiiPKT0_S5_PT_PKfS9_ii, .Lfunc_end51-_Z13wvSplitKQ_hf_I14__hip_bfloat16N3c1013Float8_e4m3fnELi64ELi2ELi16ELi16ELi2ELi1EEviiiPKT0_S5_PT_PKfS9_ii
                                        ; -- End function
	.section	.AMDGPU.csdata,"",@progbits
; Kernel info:
; codeLenInByte = 76
; NumSgprs: 36
; NumVgprs: 50
; ScratchSize: 64
; MemoryBound: 0
; FloatMode: 240
; IeeeMode: 1
; LDSByteSize: 0 bytes/workgroup (compile time only)
; SGPRBlocks: 4
; VGPRBlocks: 6
; NumSGPRsForWavesPerEU: 36
; NumVGPRsForWavesPerEU: 50
; Occupancy: 16
; WaveLimiterHint : 1
; COMPUTE_PGM_RSRC2:SCRATCH_EN: 1
; COMPUTE_PGM_RSRC2:USER_SGPR: 15
; COMPUTE_PGM_RSRC2:TRAP_HANDLER: 0
; COMPUTE_PGM_RSRC2:TGID_X_EN: 1
; COMPUTE_PGM_RSRC2:TGID_Y_EN: 0
; COMPUTE_PGM_RSRC2:TGID_Z_EN: 0
; COMPUTE_PGM_RSRC2:TIDIG_COMP_CNT: 0
	.section	.text._Z17wvSplitKQ_hf_sml_I14__hip_bfloat16N3c1013Float8_e4m3fnELi64ELi2ELi16ELi16ELi2ELi2EEviiiPKT0_S5_PT_PKfS9_ii,"axG",@progbits,_Z17wvSplitKQ_hf_sml_I14__hip_bfloat16N3c1013Float8_e4m3fnELi64ELi2ELi16ELi16ELi2ELi2EEviiiPKT0_S5_PT_PKfS9_ii,comdat
	.protected	_Z17wvSplitKQ_hf_sml_I14__hip_bfloat16N3c1013Float8_e4m3fnELi64ELi2ELi16ELi16ELi2ELi2EEviiiPKT0_S5_PT_PKfS9_ii ; -- Begin function _Z17wvSplitKQ_hf_sml_I14__hip_bfloat16N3c1013Float8_e4m3fnELi64ELi2ELi16ELi16ELi2ELi2EEviiiPKT0_S5_PT_PKfS9_ii
	.globl	_Z17wvSplitKQ_hf_sml_I14__hip_bfloat16N3c1013Float8_e4m3fnELi64ELi2ELi16ELi16ELi2ELi2EEviiiPKT0_S5_PT_PKfS9_ii
	.p2align	8
	.type	_Z17wvSplitKQ_hf_sml_I14__hip_bfloat16N3c1013Float8_e4m3fnELi64ELi2ELi16ELi16ELi2ELi2EEviiiPKT0_S5_PT_PKfS9_ii,@function
_Z17wvSplitKQ_hf_sml_I14__hip_bfloat16N3c1013Float8_e4m3fnELi64ELi2ELi16ELi16ELi2ELi2EEviiiPKT0_S5_PT_PKfS9_ii: ; @_Z17wvSplitKQ_hf_sml_I14__hip_bfloat16N3c1013Float8_e4m3fnELi64ELi2ELi16ELi16ELi2ELi2EEviiiPKT0_S5_PT_PKfS9_ii
; %bb.0:
	s_add_u32 s8, s0, 64
	s_addc_u32 s9, s1, 0
	s_getpc_b64 s[0:1]
	s_add_u32 s0, s0, __PRETTY_FUNCTION__._Z17wvSplitKQ_hf_sml_I14__hip_bfloat16N3c1013Float8_e4m3fnELi64ELi2ELi16ELi16ELi2ELi2EEviiiPKT0_S5_PT_PKfS9_ii@rel32@lo+4
	s_addc_u32 s1, s1, __PRETTY_FUNCTION__._Z17wvSplitKQ_hf_sml_I14__hip_bfloat16N3c1013Float8_e4m3fnELi64ELi2ELi16ELi16ELi2ELi2EEviiiPKT0_S5_PT_PKfS9_ii@rel32@hi+12
	v_dual_mov_b32 v0, 0x5c1 :: v_dual_mov_b32 v1, s0
	v_mov_b32_e32 v2, s1
	s_mov_b32 s32, 0
	s_getpc_b64 s[2:3]
	s_add_u32 s2, s2, __assert_fail@rel32@lo+4
	s_addc_u32 s3, s3, __assert_fail@rel32@hi+12
	s_delay_alu instid0(SALU_CYCLE_1)
	s_swappc_b64 s[30:31], s[2:3]
	.section	.rodata,"a",@progbits
	.p2align	6, 0x0
	.amdhsa_kernel _Z17wvSplitKQ_hf_sml_I14__hip_bfloat16N3c1013Float8_e4m3fnELi64ELi2ELi16ELi16ELi2ELi2EEviiiPKT0_S5_PT_PKfS9_ii
		.amdhsa_group_segment_fixed_size 0
		.amdhsa_private_segment_fixed_size 64
		.amdhsa_kernarg_size 320
		.amdhsa_user_sgpr_count 15
		.amdhsa_user_sgpr_dispatch_ptr 0
		.amdhsa_user_sgpr_queue_ptr 0
		.amdhsa_user_sgpr_kernarg_segment_ptr 1
		.amdhsa_user_sgpr_dispatch_id 0
		.amdhsa_user_sgpr_private_segment_size 0
		.amdhsa_wavefront_size32 1
		.amdhsa_uses_dynamic_stack 0
		.amdhsa_enable_private_segment 1
		.amdhsa_system_sgpr_workgroup_id_x 1
		.amdhsa_system_sgpr_workgroup_id_y 0
		.amdhsa_system_sgpr_workgroup_id_z 0
		.amdhsa_system_sgpr_workgroup_info 0
		.amdhsa_system_vgpr_workitem_id 0
		.amdhsa_next_free_vgpr 50
		.amdhsa_next_free_sgpr 34
		.amdhsa_reserve_vcc 1
		.amdhsa_float_round_mode_32 0
		.amdhsa_float_round_mode_16_64 0
		.amdhsa_float_denorm_mode_32 3
		.amdhsa_float_denorm_mode_16_64 3
		.amdhsa_dx10_clamp 1
		.amdhsa_ieee_mode 1
		.amdhsa_fp16_overflow 0
		.amdhsa_workgroup_processor_mode 1
		.amdhsa_memory_ordered 1
		.amdhsa_forward_progress 0
		.amdhsa_shared_vgpr_count 0
		.amdhsa_exception_fp_ieee_invalid_op 0
		.amdhsa_exception_fp_denorm_src 0
		.amdhsa_exception_fp_ieee_div_zero 0
		.amdhsa_exception_fp_ieee_overflow 0
		.amdhsa_exception_fp_ieee_underflow 0
		.amdhsa_exception_fp_ieee_inexact 0
		.amdhsa_exception_int_div_zero 0
	.end_amdhsa_kernel
	.section	.text._Z17wvSplitKQ_hf_sml_I14__hip_bfloat16N3c1013Float8_e4m3fnELi64ELi2ELi16ELi16ELi2ELi2EEviiiPKT0_S5_PT_PKfS9_ii,"axG",@progbits,_Z17wvSplitKQ_hf_sml_I14__hip_bfloat16N3c1013Float8_e4m3fnELi64ELi2ELi16ELi16ELi2ELi2EEviiiPKT0_S5_PT_PKfS9_ii,comdat
.Lfunc_end52:
	.size	_Z17wvSplitKQ_hf_sml_I14__hip_bfloat16N3c1013Float8_e4m3fnELi64ELi2ELi16ELi16ELi2ELi2EEviiiPKT0_S5_PT_PKfS9_ii, .Lfunc_end52-_Z17wvSplitKQ_hf_sml_I14__hip_bfloat16N3c1013Float8_e4m3fnELi64ELi2ELi16ELi16ELi2ELi2EEviiiPKT0_S5_PT_PKfS9_ii
                                        ; -- End function
	.section	.AMDGPU.csdata,"",@progbits
; Kernel info:
; codeLenInByte = 76
; NumSgprs: 36
; NumVgprs: 50
; ScratchSize: 64
; MemoryBound: 0
; FloatMode: 240
; IeeeMode: 1
; LDSByteSize: 0 bytes/workgroup (compile time only)
; SGPRBlocks: 4
; VGPRBlocks: 6
; NumSGPRsForWavesPerEU: 36
; NumVGPRsForWavesPerEU: 50
; Occupancy: 16
; WaveLimiterHint : 1
; COMPUTE_PGM_RSRC2:SCRATCH_EN: 1
; COMPUTE_PGM_RSRC2:USER_SGPR: 15
; COMPUTE_PGM_RSRC2:TRAP_HANDLER: 0
; COMPUTE_PGM_RSRC2:TGID_X_EN: 1
; COMPUTE_PGM_RSRC2:TGID_Y_EN: 0
; COMPUTE_PGM_RSRC2:TGID_Z_EN: 0
; COMPUTE_PGM_RSRC2:TIDIG_COMP_CNT: 0
	.section	.text._Z13wvSplitKQ_hf_I14__hip_bfloat16N3c1013Float8_e4m3fnELi64ELi2ELi16ELi16ELi2ELi2EEviiiPKT0_S5_PT_PKfS9_ii,"axG",@progbits,_Z13wvSplitKQ_hf_I14__hip_bfloat16N3c1013Float8_e4m3fnELi64ELi2ELi16ELi16ELi2ELi2EEviiiPKT0_S5_PT_PKfS9_ii,comdat
	.protected	_Z13wvSplitKQ_hf_I14__hip_bfloat16N3c1013Float8_e4m3fnELi64ELi2ELi16ELi16ELi2ELi2EEviiiPKT0_S5_PT_PKfS9_ii ; -- Begin function _Z13wvSplitKQ_hf_I14__hip_bfloat16N3c1013Float8_e4m3fnELi64ELi2ELi16ELi16ELi2ELi2EEviiiPKT0_S5_PT_PKfS9_ii
	.globl	_Z13wvSplitKQ_hf_I14__hip_bfloat16N3c1013Float8_e4m3fnELi64ELi2ELi16ELi16ELi2ELi2EEviiiPKT0_S5_PT_PKfS9_ii
	.p2align	8
	.type	_Z13wvSplitKQ_hf_I14__hip_bfloat16N3c1013Float8_e4m3fnELi64ELi2ELi16ELi16ELi2ELi2EEviiiPKT0_S5_PT_PKfS9_ii,@function
_Z13wvSplitKQ_hf_I14__hip_bfloat16N3c1013Float8_e4m3fnELi64ELi2ELi16ELi16ELi2ELi2EEviiiPKT0_S5_PT_PKfS9_ii: ; @_Z13wvSplitKQ_hf_I14__hip_bfloat16N3c1013Float8_e4m3fnELi64ELi2ELi16ELi16ELi2ELi2EEviiiPKT0_S5_PT_PKfS9_ii
; %bb.0:
	s_add_u32 s8, s0, 64
	s_addc_u32 s9, s1, 0
	s_getpc_b64 s[0:1]
	s_add_u32 s0, s0, __PRETTY_FUNCTION__._Z13wvSplitKQ_hf_I14__hip_bfloat16N3c1013Float8_e4m3fnELi64ELi2ELi16ELi16ELi2ELi2EEviiiPKT0_S5_PT_PKfS9_ii@rel32@lo+4
	s_addc_u32 s1, s1, __PRETTY_FUNCTION__._Z13wvSplitKQ_hf_I14__hip_bfloat16N3c1013Float8_e4m3fnELi64ELi2ELi16ELi16ELi2ELi2EEviiiPKT0_S5_PT_PKfS9_ii@rel32@hi+12
	v_dual_mov_b32 v0, 0x66e :: v_dual_mov_b32 v1, s0
	v_mov_b32_e32 v2, s1
	s_mov_b32 s32, 0
	s_getpc_b64 s[2:3]
	s_add_u32 s2, s2, __assert_fail@rel32@lo+4
	s_addc_u32 s3, s3, __assert_fail@rel32@hi+12
	s_delay_alu instid0(SALU_CYCLE_1)
	s_swappc_b64 s[30:31], s[2:3]
	.section	.rodata,"a",@progbits
	.p2align	6, 0x0
	.amdhsa_kernel _Z13wvSplitKQ_hf_I14__hip_bfloat16N3c1013Float8_e4m3fnELi64ELi2ELi16ELi16ELi2ELi2EEviiiPKT0_S5_PT_PKfS9_ii
		.amdhsa_group_segment_fixed_size 0
		.amdhsa_private_segment_fixed_size 64
		.amdhsa_kernarg_size 320
		.amdhsa_user_sgpr_count 15
		.amdhsa_user_sgpr_dispatch_ptr 0
		.amdhsa_user_sgpr_queue_ptr 0
		.amdhsa_user_sgpr_kernarg_segment_ptr 1
		.amdhsa_user_sgpr_dispatch_id 0
		.amdhsa_user_sgpr_private_segment_size 0
		.amdhsa_wavefront_size32 1
		.amdhsa_uses_dynamic_stack 0
		.amdhsa_enable_private_segment 1
		.amdhsa_system_sgpr_workgroup_id_x 1
		.amdhsa_system_sgpr_workgroup_id_y 0
		.amdhsa_system_sgpr_workgroup_id_z 0
		.amdhsa_system_sgpr_workgroup_info 0
		.amdhsa_system_vgpr_workitem_id 0
		.amdhsa_next_free_vgpr 50
		.amdhsa_next_free_sgpr 34
		.amdhsa_reserve_vcc 1
		.amdhsa_float_round_mode_32 0
		.amdhsa_float_round_mode_16_64 0
		.amdhsa_float_denorm_mode_32 3
		.amdhsa_float_denorm_mode_16_64 3
		.amdhsa_dx10_clamp 1
		.amdhsa_ieee_mode 1
		.amdhsa_fp16_overflow 0
		.amdhsa_workgroup_processor_mode 1
		.amdhsa_memory_ordered 1
		.amdhsa_forward_progress 0
		.amdhsa_shared_vgpr_count 0
		.amdhsa_exception_fp_ieee_invalid_op 0
		.amdhsa_exception_fp_denorm_src 0
		.amdhsa_exception_fp_ieee_div_zero 0
		.amdhsa_exception_fp_ieee_overflow 0
		.amdhsa_exception_fp_ieee_underflow 0
		.amdhsa_exception_fp_ieee_inexact 0
		.amdhsa_exception_int_div_zero 0
	.end_amdhsa_kernel
	.section	.text._Z13wvSplitKQ_hf_I14__hip_bfloat16N3c1013Float8_e4m3fnELi64ELi2ELi16ELi16ELi2ELi2EEviiiPKT0_S5_PT_PKfS9_ii,"axG",@progbits,_Z13wvSplitKQ_hf_I14__hip_bfloat16N3c1013Float8_e4m3fnELi64ELi2ELi16ELi16ELi2ELi2EEviiiPKT0_S5_PT_PKfS9_ii,comdat
.Lfunc_end53:
	.size	_Z13wvSplitKQ_hf_I14__hip_bfloat16N3c1013Float8_e4m3fnELi64ELi2ELi16ELi16ELi2ELi2EEviiiPKT0_S5_PT_PKfS9_ii, .Lfunc_end53-_Z13wvSplitKQ_hf_I14__hip_bfloat16N3c1013Float8_e4m3fnELi64ELi2ELi16ELi16ELi2ELi2EEviiiPKT0_S5_PT_PKfS9_ii
                                        ; -- End function
	.section	.AMDGPU.csdata,"",@progbits
; Kernel info:
; codeLenInByte = 76
; NumSgprs: 36
; NumVgprs: 50
; ScratchSize: 64
; MemoryBound: 0
; FloatMode: 240
; IeeeMode: 1
; LDSByteSize: 0 bytes/workgroup (compile time only)
; SGPRBlocks: 4
; VGPRBlocks: 6
; NumSGPRsForWavesPerEU: 36
; NumVGPRsForWavesPerEU: 50
; Occupancy: 16
; WaveLimiterHint : 1
; COMPUTE_PGM_RSRC2:SCRATCH_EN: 1
; COMPUTE_PGM_RSRC2:USER_SGPR: 15
; COMPUTE_PGM_RSRC2:TRAP_HANDLER: 0
; COMPUTE_PGM_RSRC2:TGID_X_EN: 1
; COMPUTE_PGM_RSRC2:TGID_Y_EN: 0
; COMPUTE_PGM_RSRC2:TGID_Z_EN: 0
; COMPUTE_PGM_RSRC2:TIDIG_COMP_CNT: 0
	.section	.text._Z17wvSplitKQ_hf_sml_I14__hip_bfloat16N3c1013Float8_e4m3fnELi64ELi4ELi16ELi16ELi1ELi3EEviiiPKT0_S5_PT_PKfS9_ii,"axG",@progbits,_Z17wvSplitKQ_hf_sml_I14__hip_bfloat16N3c1013Float8_e4m3fnELi64ELi4ELi16ELi16ELi1ELi3EEviiiPKT0_S5_PT_PKfS9_ii,comdat
	.protected	_Z17wvSplitKQ_hf_sml_I14__hip_bfloat16N3c1013Float8_e4m3fnELi64ELi4ELi16ELi16ELi1ELi3EEviiiPKT0_S5_PT_PKfS9_ii ; -- Begin function _Z17wvSplitKQ_hf_sml_I14__hip_bfloat16N3c1013Float8_e4m3fnELi64ELi4ELi16ELi16ELi1ELi3EEviiiPKT0_S5_PT_PKfS9_ii
	.globl	_Z17wvSplitKQ_hf_sml_I14__hip_bfloat16N3c1013Float8_e4m3fnELi64ELi4ELi16ELi16ELi1ELi3EEviiiPKT0_S5_PT_PKfS9_ii
	.p2align	8
	.type	_Z17wvSplitKQ_hf_sml_I14__hip_bfloat16N3c1013Float8_e4m3fnELi64ELi4ELi16ELi16ELi1ELi3EEviiiPKT0_S5_PT_PKfS9_ii,@function
_Z17wvSplitKQ_hf_sml_I14__hip_bfloat16N3c1013Float8_e4m3fnELi64ELi4ELi16ELi16ELi1ELi3EEviiiPKT0_S5_PT_PKfS9_ii: ; @_Z17wvSplitKQ_hf_sml_I14__hip_bfloat16N3c1013Float8_e4m3fnELi64ELi4ELi16ELi16ELi1ELi3EEviiiPKT0_S5_PT_PKfS9_ii
; %bb.0:
	s_add_u32 s8, s0, 64
	s_addc_u32 s9, s1, 0
	s_getpc_b64 s[0:1]
	s_add_u32 s0, s0, __PRETTY_FUNCTION__._Z17wvSplitKQ_hf_sml_I14__hip_bfloat16N3c1013Float8_e4m3fnELi64ELi4ELi16ELi16ELi1ELi3EEviiiPKT0_S5_PT_PKfS9_ii@rel32@lo+4
	s_addc_u32 s1, s1, __PRETTY_FUNCTION__._Z17wvSplitKQ_hf_sml_I14__hip_bfloat16N3c1013Float8_e4m3fnELi64ELi4ELi16ELi16ELi1ELi3EEviiiPKT0_S5_PT_PKfS9_ii@rel32@hi+12
	v_dual_mov_b32 v0, 0x5c1 :: v_dual_mov_b32 v1, s0
	v_mov_b32_e32 v2, s1
	s_mov_b32 s32, 0
	s_getpc_b64 s[2:3]
	s_add_u32 s2, s2, __assert_fail@rel32@lo+4
	s_addc_u32 s3, s3, __assert_fail@rel32@hi+12
	s_delay_alu instid0(SALU_CYCLE_1)
	s_swappc_b64 s[30:31], s[2:3]
	.section	.rodata,"a",@progbits
	.p2align	6, 0x0
	.amdhsa_kernel _Z17wvSplitKQ_hf_sml_I14__hip_bfloat16N3c1013Float8_e4m3fnELi64ELi4ELi16ELi16ELi1ELi3EEviiiPKT0_S5_PT_PKfS9_ii
		.amdhsa_group_segment_fixed_size 0
		.amdhsa_private_segment_fixed_size 64
		.amdhsa_kernarg_size 320
		.amdhsa_user_sgpr_count 15
		.amdhsa_user_sgpr_dispatch_ptr 0
		.amdhsa_user_sgpr_queue_ptr 0
		.amdhsa_user_sgpr_kernarg_segment_ptr 1
		.amdhsa_user_sgpr_dispatch_id 0
		.amdhsa_user_sgpr_private_segment_size 0
		.amdhsa_wavefront_size32 1
		.amdhsa_uses_dynamic_stack 0
		.amdhsa_enable_private_segment 1
		.amdhsa_system_sgpr_workgroup_id_x 1
		.amdhsa_system_sgpr_workgroup_id_y 0
		.amdhsa_system_sgpr_workgroup_id_z 0
		.amdhsa_system_sgpr_workgroup_info 0
		.amdhsa_system_vgpr_workitem_id 0
		.amdhsa_next_free_vgpr 50
		.amdhsa_next_free_sgpr 34
		.amdhsa_reserve_vcc 1
		.amdhsa_float_round_mode_32 0
		.amdhsa_float_round_mode_16_64 0
		.amdhsa_float_denorm_mode_32 3
		.amdhsa_float_denorm_mode_16_64 3
		.amdhsa_dx10_clamp 1
		.amdhsa_ieee_mode 1
		.amdhsa_fp16_overflow 0
		.amdhsa_workgroup_processor_mode 1
		.amdhsa_memory_ordered 1
		.amdhsa_forward_progress 0
		.amdhsa_shared_vgpr_count 0
		.amdhsa_exception_fp_ieee_invalid_op 0
		.amdhsa_exception_fp_denorm_src 0
		.amdhsa_exception_fp_ieee_div_zero 0
		.amdhsa_exception_fp_ieee_overflow 0
		.amdhsa_exception_fp_ieee_underflow 0
		.amdhsa_exception_fp_ieee_inexact 0
		.amdhsa_exception_int_div_zero 0
	.end_amdhsa_kernel
	.section	.text._Z17wvSplitKQ_hf_sml_I14__hip_bfloat16N3c1013Float8_e4m3fnELi64ELi4ELi16ELi16ELi1ELi3EEviiiPKT0_S5_PT_PKfS9_ii,"axG",@progbits,_Z17wvSplitKQ_hf_sml_I14__hip_bfloat16N3c1013Float8_e4m3fnELi64ELi4ELi16ELi16ELi1ELi3EEviiiPKT0_S5_PT_PKfS9_ii,comdat
.Lfunc_end54:
	.size	_Z17wvSplitKQ_hf_sml_I14__hip_bfloat16N3c1013Float8_e4m3fnELi64ELi4ELi16ELi16ELi1ELi3EEviiiPKT0_S5_PT_PKfS9_ii, .Lfunc_end54-_Z17wvSplitKQ_hf_sml_I14__hip_bfloat16N3c1013Float8_e4m3fnELi64ELi4ELi16ELi16ELi1ELi3EEviiiPKT0_S5_PT_PKfS9_ii
                                        ; -- End function
	.section	.AMDGPU.csdata,"",@progbits
; Kernel info:
; codeLenInByte = 76
; NumSgprs: 36
; NumVgprs: 50
; ScratchSize: 64
; MemoryBound: 0
; FloatMode: 240
; IeeeMode: 1
; LDSByteSize: 0 bytes/workgroup (compile time only)
; SGPRBlocks: 4
; VGPRBlocks: 6
; NumSGPRsForWavesPerEU: 36
; NumVGPRsForWavesPerEU: 50
; Occupancy: 16
; WaveLimiterHint : 1
; COMPUTE_PGM_RSRC2:SCRATCH_EN: 1
; COMPUTE_PGM_RSRC2:USER_SGPR: 15
; COMPUTE_PGM_RSRC2:TRAP_HANDLER: 0
; COMPUTE_PGM_RSRC2:TGID_X_EN: 1
; COMPUTE_PGM_RSRC2:TGID_Y_EN: 0
; COMPUTE_PGM_RSRC2:TGID_Z_EN: 0
; COMPUTE_PGM_RSRC2:TIDIG_COMP_CNT: 0
	.section	.text._Z13wvSplitKQ_hf_I14__hip_bfloat16N3c1013Float8_e4m3fnELi64ELi7ELi16ELi16ELi1ELi3EEviiiPKT0_S5_PT_PKfS9_ii,"axG",@progbits,_Z13wvSplitKQ_hf_I14__hip_bfloat16N3c1013Float8_e4m3fnELi64ELi7ELi16ELi16ELi1ELi3EEviiiPKT0_S5_PT_PKfS9_ii,comdat
	.protected	_Z13wvSplitKQ_hf_I14__hip_bfloat16N3c1013Float8_e4m3fnELi64ELi7ELi16ELi16ELi1ELi3EEviiiPKT0_S5_PT_PKfS9_ii ; -- Begin function _Z13wvSplitKQ_hf_I14__hip_bfloat16N3c1013Float8_e4m3fnELi64ELi7ELi16ELi16ELi1ELi3EEviiiPKT0_S5_PT_PKfS9_ii
	.globl	_Z13wvSplitKQ_hf_I14__hip_bfloat16N3c1013Float8_e4m3fnELi64ELi7ELi16ELi16ELi1ELi3EEviiiPKT0_S5_PT_PKfS9_ii
	.p2align	8
	.type	_Z13wvSplitKQ_hf_I14__hip_bfloat16N3c1013Float8_e4m3fnELi64ELi7ELi16ELi16ELi1ELi3EEviiiPKT0_S5_PT_PKfS9_ii,@function
_Z13wvSplitKQ_hf_I14__hip_bfloat16N3c1013Float8_e4m3fnELi64ELi7ELi16ELi16ELi1ELi3EEviiiPKT0_S5_PT_PKfS9_ii: ; @_Z13wvSplitKQ_hf_I14__hip_bfloat16N3c1013Float8_e4m3fnELi64ELi7ELi16ELi16ELi1ELi3EEviiiPKT0_S5_PT_PKfS9_ii
; %bb.0:
	s_add_u32 s8, s0, 64
	s_addc_u32 s9, s1, 0
	s_getpc_b64 s[0:1]
	s_add_u32 s0, s0, __PRETTY_FUNCTION__._Z13wvSplitKQ_hf_I14__hip_bfloat16N3c1013Float8_e4m3fnELi64ELi7ELi16ELi16ELi1ELi3EEviiiPKT0_S5_PT_PKfS9_ii@rel32@lo+4
	s_addc_u32 s1, s1, __PRETTY_FUNCTION__._Z13wvSplitKQ_hf_I14__hip_bfloat16N3c1013Float8_e4m3fnELi64ELi7ELi16ELi16ELi1ELi3EEviiiPKT0_S5_PT_PKfS9_ii@rel32@hi+12
	v_dual_mov_b32 v0, 0x66e :: v_dual_mov_b32 v1, s0
	v_mov_b32_e32 v2, s1
	s_mov_b32 s32, 0
	s_getpc_b64 s[2:3]
	s_add_u32 s2, s2, __assert_fail@rel32@lo+4
	s_addc_u32 s3, s3, __assert_fail@rel32@hi+12
	s_delay_alu instid0(SALU_CYCLE_1)
	s_swappc_b64 s[30:31], s[2:3]
	.section	.rodata,"a",@progbits
	.p2align	6, 0x0
	.amdhsa_kernel _Z13wvSplitKQ_hf_I14__hip_bfloat16N3c1013Float8_e4m3fnELi64ELi7ELi16ELi16ELi1ELi3EEviiiPKT0_S5_PT_PKfS9_ii
		.amdhsa_group_segment_fixed_size 0
		.amdhsa_private_segment_fixed_size 64
		.amdhsa_kernarg_size 320
		.amdhsa_user_sgpr_count 15
		.amdhsa_user_sgpr_dispatch_ptr 0
		.amdhsa_user_sgpr_queue_ptr 0
		.amdhsa_user_sgpr_kernarg_segment_ptr 1
		.amdhsa_user_sgpr_dispatch_id 0
		.amdhsa_user_sgpr_private_segment_size 0
		.amdhsa_wavefront_size32 1
		.amdhsa_uses_dynamic_stack 0
		.amdhsa_enable_private_segment 1
		.amdhsa_system_sgpr_workgroup_id_x 1
		.amdhsa_system_sgpr_workgroup_id_y 0
		.amdhsa_system_sgpr_workgroup_id_z 0
		.amdhsa_system_sgpr_workgroup_info 0
		.amdhsa_system_vgpr_workitem_id 0
		.amdhsa_next_free_vgpr 50
		.amdhsa_next_free_sgpr 34
		.amdhsa_reserve_vcc 1
		.amdhsa_float_round_mode_32 0
		.amdhsa_float_round_mode_16_64 0
		.amdhsa_float_denorm_mode_32 3
		.amdhsa_float_denorm_mode_16_64 3
		.amdhsa_dx10_clamp 1
		.amdhsa_ieee_mode 1
		.amdhsa_fp16_overflow 0
		.amdhsa_workgroup_processor_mode 1
		.amdhsa_memory_ordered 1
		.amdhsa_forward_progress 0
		.amdhsa_shared_vgpr_count 0
		.amdhsa_exception_fp_ieee_invalid_op 0
		.amdhsa_exception_fp_denorm_src 0
		.amdhsa_exception_fp_ieee_div_zero 0
		.amdhsa_exception_fp_ieee_overflow 0
		.amdhsa_exception_fp_ieee_underflow 0
		.amdhsa_exception_fp_ieee_inexact 0
		.amdhsa_exception_int_div_zero 0
	.end_amdhsa_kernel
	.section	.text._Z13wvSplitKQ_hf_I14__hip_bfloat16N3c1013Float8_e4m3fnELi64ELi7ELi16ELi16ELi1ELi3EEviiiPKT0_S5_PT_PKfS9_ii,"axG",@progbits,_Z13wvSplitKQ_hf_I14__hip_bfloat16N3c1013Float8_e4m3fnELi64ELi7ELi16ELi16ELi1ELi3EEviiiPKT0_S5_PT_PKfS9_ii,comdat
.Lfunc_end55:
	.size	_Z13wvSplitKQ_hf_I14__hip_bfloat16N3c1013Float8_e4m3fnELi64ELi7ELi16ELi16ELi1ELi3EEviiiPKT0_S5_PT_PKfS9_ii, .Lfunc_end55-_Z13wvSplitKQ_hf_I14__hip_bfloat16N3c1013Float8_e4m3fnELi64ELi7ELi16ELi16ELi1ELi3EEviiiPKT0_S5_PT_PKfS9_ii
                                        ; -- End function
	.section	.AMDGPU.csdata,"",@progbits
; Kernel info:
; codeLenInByte = 76
; NumSgprs: 36
; NumVgprs: 50
; ScratchSize: 64
; MemoryBound: 0
; FloatMode: 240
; IeeeMode: 1
; LDSByteSize: 0 bytes/workgroup (compile time only)
; SGPRBlocks: 4
; VGPRBlocks: 6
; NumSGPRsForWavesPerEU: 36
; NumVGPRsForWavesPerEU: 50
; Occupancy: 16
; WaveLimiterHint : 1
; COMPUTE_PGM_RSRC2:SCRATCH_EN: 1
; COMPUTE_PGM_RSRC2:USER_SGPR: 15
; COMPUTE_PGM_RSRC2:TRAP_HANDLER: 0
; COMPUTE_PGM_RSRC2:TGID_X_EN: 1
; COMPUTE_PGM_RSRC2:TGID_Y_EN: 0
; COMPUTE_PGM_RSRC2:TGID_Z_EN: 0
; COMPUTE_PGM_RSRC2:TIDIG_COMP_CNT: 0
	.section	.text._Z17wvSplitKQ_hf_sml_I14__hip_bfloat16N3c1013Float8_e4m3fnELi64ELi4ELi16ELi16ELi1ELi4EEviiiPKT0_S5_PT_PKfS9_ii,"axG",@progbits,_Z17wvSplitKQ_hf_sml_I14__hip_bfloat16N3c1013Float8_e4m3fnELi64ELi4ELi16ELi16ELi1ELi4EEviiiPKT0_S5_PT_PKfS9_ii,comdat
	.protected	_Z17wvSplitKQ_hf_sml_I14__hip_bfloat16N3c1013Float8_e4m3fnELi64ELi4ELi16ELi16ELi1ELi4EEviiiPKT0_S5_PT_PKfS9_ii ; -- Begin function _Z17wvSplitKQ_hf_sml_I14__hip_bfloat16N3c1013Float8_e4m3fnELi64ELi4ELi16ELi16ELi1ELi4EEviiiPKT0_S5_PT_PKfS9_ii
	.globl	_Z17wvSplitKQ_hf_sml_I14__hip_bfloat16N3c1013Float8_e4m3fnELi64ELi4ELi16ELi16ELi1ELi4EEviiiPKT0_S5_PT_PKfS9_ii
	.p2align	8
	.type	_Z17wvSplitKQ_hf_sml_I14__hip_bfloat16N3c1013Float8_e4m3fnELi64ELi4ELi16ELi16ELi1ELi4EEviiiPKT0_S5_PT_PKfS9_ii,@function
_Z17wvSplitKQ_hf_sml_I14__hip_bfloat16N3c1013Float8_e4m3fnELi64ELi4ELi16ELi16ELi1ELi4EEviiiPKT0_S5_PT_PKfS9_ii: ; @_Z17wvSplitKQ_hf_sml_I14__hip_bfloat16N3c1013Float8_e4m3fnELi64ELi4ELi16ELi16ELi1ELi4EEviiiPKT0_S5_PT_PKfS9_ii
; %bb.0:
	s_add_u32 s8, s0, 64
	s_addc_u32 s9, s1, 0
	s_getpc_b64 s[0:1]
	s_add_u32 s0, s0, __PRETTY_FUNCTION__._Z17wvSplitKQ_hf_sml_I14__hip_bfloat16N3c1013Float8_e4m3fnELi64ELi4ELi16ELi16ELi1ELi4EEviiiPKT0_S5_PT_PKfS9_ii@rel32@lo+4
	s_addc_u32 s1, s1, __PRETTY_FUNCTION__._Z17wvSplitKQ_hf_sml_I14__hip_bfloat16N3c1013Float8_e4m3fnELi64ELi4ELi16ELi16ELi1ELi4EEviiiPKT0_S5_PT_PKfS9_ii@rel32@hi+12
	v_dual_mov_b32 v0, 0x5c1 :: v_dual_mov_b32 v1, s0
	v_mov_b32_e32 v2, s1
	s_mov_b32 s32, 0
	s_getpc_b64 s[2:3]
	s_add_u32 s2, s2, __assert_fail@rel32@lo+4
	s_addc_u32 s3, s3, __assert_fail@rel32@hi+12
	s_delay_alu instid0(SALU_CYCLE_1)
	s_swappc_b64 s[30:31], s[2:3]
	.section	.rodata,"a",@progbits
	.p2align	6, 0x0
	.amdhsa_kernel _Z17wvSplitKQ_hf_sml_I14__hip_bfloat16N3c1013Float8_e4m3fnELi64ELi4ELi16ELi16ELi1ELi4EEviiiPKT0_S5_PT_PKfS9_ii
		.amdhsa_group_segment_fixed_size 0
		.amdhsa_private_segment_fixed_size 64
		.amdhsa_kernarg_size 320
		.amdhsa_user_sgpr_count 15
		.amdhsa_user_sgpr_dispatch_ptr 0
		.amdhsa_user_sgpr_queue_ptr 0
		.amdhsa_user_sgpr_kernarg_segment_ptr 1
		.amdhsa_user_sgpr_dispatch_id 0
		.amdhsa_user_sgpr_private_segment_size 0
		.amdhsa_wavefront_size32 1
		.amdhsa_uses_dynamic_stack 0
		.amdhsa_enable_private_segment 1
		.amdhsa_system_sgpr_workgroup_id_x 1
		.amdhsa_system_sgpr_workgroup_id_y 0
		.amdhsa_system_sgpr_workgroup_id_z 0
		.amdhsa_system_sgpr_workgroup_info 0
		.amdhsa_system_vgpr_workitem_id 0
		.amdhsa_next_free_vgpr 50
		.amdhsa_next_free_sgpr 34
		.amdhsa_reserve_vcc 1
		.amdhsa_float_round_mode_32 0
		.amdhsa_float_round_mode_16_64 0
		.amdhsa_float_denorm_mode_32 3
		.amdhsa_float_denorm_mode_16_64 3
		.amdhsa_dx10_clamp 1
		.amdhsa_ieee_mode 1
		.amdhsa_fp16_overflow 0
		.amdhsa_workgroup_processor_mode 1
		.amdhsa_memory_ordered 1
		.amdhsa_forward_progress 0
		.amdhsa_shared_vgpr_count 0
		.amdhsa_exception_fp_ieee_invalid_op 0
		.amdhsa_exception_fp_denorm_src 0
		.amdhsa_exception_fp_ieee_div_zero 0
		.amdhsa_exception_fp_ieee_overflow 0
		.amdhsa_exception_fp_ieee_underflow 0
		.amdhsa_exception_fp_ieee_inexact 0
		.amdhsa_exception_int_div_zero 0
	.end_amdhsa_kernel
	.section	.text._Z17wvSplitKQ_hf_sml_I14__hip_bfloat16N3c1013Float8_e4m3fnELi64ELi4ELi16ELi16ELi1ELi4EEviiiPKT0_S5_PT_PKfS9_ii,"axG",@progbits,_Z17wvSplitKQ_hf_sml_I14__hip_bfloat16N3c1013Float8_e4m3fnELi64ELi4ELi16ELi16ELi1ELi4EEviiiPKT0_S5_PT_PKfS9_ii,comdat
.Lfunc_end56:
	.size	_Z17wvSplitKQ_hf_sml_I14__hip_bfloat16N3c1013Float8_e4m3fnELi64ELi4ELi16ELi16ELi1ELi4EEviiiPKT0_S5_PT_PKfS9_ii, .Lfunc_end56-_Z17wvSplitKQ_hf_sml_I14__hip_bfloat16N3c1013Float8_e4m3fnELi64ELi4ELi16ELi16ELi1ELi4EEviiiPKT0_S5_PT_PKfS9_ii
                                        ; -- End function
	.section	.AMDGPU.csdata,"",@progbits
; Kernel info:
; codeLenInByte = 76
; NumSgprs: 36
; NumVgprs: 50
; ScratchSize: 64
; MemoryBound: 0
; FloatMode: 240
; IeeeMode: 1
; LDSByteSize: 0 bytes/workgroup (compile time only)
; SGPRBlocks: 4
; VGPRBlocks: 6
; NumSGPRsForWavesPerEU: 36
; NumVGPRsForWavesPerEU: 50
; Occupancy: 16
; WaveLimiterHint : 1
; COMPUTE_PGM_RSRC2:SCRATCH_EN: 1
; COMPUTE_PGM_RSRC2:USER_SGPR: 15
; COMPUTE_PGM_RSRC2:TRAP_HANDLER: 0
; COMPUTE_PGM_RSRC2:TGID_X_EN: 1
; COMPUTE_PGM_RSRC2:TGID_Y_EN: 0
; COMPUTE_PGM_RSRC2:TGID_Z_EN: 0
; COMPUTE_PGM_RSRC2:TIDIG_COMP_CNT: 0
	.section	.text._Z13wvSplitKQ_hf_I14__hip_bfloat16N3c1013Float8_e4m3fnELi64ELi7ELi16ELi16ELi1ELi4EEviiiPKT0_S5_PT_PKfS9_ii,"axG",@progbits,_Z13wvSplitKQ_hf_I14__hip_bfloat16N3c1013Float8_e4m3fnELi64ELi7ELi16ELi16ELi1ELi4EEviiiPKT0_S5_PT_PKfS9_ii,comdat
	.protected	_Z13wvSplitKQ_hf_I14__hip_bfloat16N3c1013Float8_e4m3fnELi64ELi7ELi16ELi16ELi1ELi4EEviiiPKT0_S5_PT_PKfS9_ii ; -- Begin function _Z13wvSplitKQ_hf_I14__hip_bfloat16N3c1013Float8_e4m3fnELi64ELi7ELi16ELi16ELi1ELi4EEviiiPKT0_S5_PT_PKfS9_ii
	.globl	_Z13wvSplitKQ_hf_I14__hip_bfloat16N3c1013Float8_e4m3fnELi64ELi7ELi16ELi16ELi1ELi4EEviiiPKT0_S5_PT_PKfS9_ii
	.p2align	8
	.type	_Z13wvSplitKQ_hf_I14__hip_bfloat16N3c1013Float8_e4m3fnELi64ELi7ELi16ELi16ELi1ELi4EEviiiPKT0_S5_PT_PKfS9_ii,@function
_Z13wvSplitKQ_hf_I14__hip_bfloat16N3c1013Float8_e4m3fnELi64ELi7ELi16ELi16ELi1ELi4EEviiiPKT0_S5_PT_PKfS9_ii: ; @_Z13wvSplitKQ_hf_I14__hip_bfloat16N3c1013Float8_e4m3fnELi64ELi7ELi16ELi16ELi1ELi4EEviiiPKT0_S5_PT_PKfS9_ii
; %bb.0:
	s_add_u32 s8, s0, 64
	s_addc_u32 s9, s1, 0
	s_getpc_b64 s[0:1]
	s_add_u32 s0, s0, __PRETTY_FUNCTION__._Z13wvSplitKQ_hf_I14__hip_bfloat16N3c1013Float8_e4m3fnELi64ELi7ELi16ELi16ELi1ELi4EEviiiPKT0_S5_PT_PKfS9_ii@rel32@lo+4
	s_addc_u32 s1, s1, __PRETTY_FUNCTION__._Z13wvSplitKQ_hf_I14__hip_bfloat16N3c1013Float8_e4m3fnELi64ELi7ELi16ELi16ELi1ELi4EEviiiPKT0_S5_PT_PKfS9_ii@rel32@hi+12
	v_dual_mov_b32 v0, 0x66e :: v_dual_mov_b32 v1, s0
	v_mov_b32_e32 v2, s1
	s_mov_b32 s32, 0
	s_getpc_b64 s[2:3]
	s_add_u32 s2, s2, __assert_fail@rel32@lo+4
	s_addc_u32 s3, s3, __assert_fail@rel32@hi+12
	s_delay_alu instid0(SALU_CYCLE_1)
	s_swappc_b64 s[30:31], s[2:3]
	.section	.rodata,"a",@progbits
	.p2align	6, 0x0
	.amdhsa_kernel _Z13wvSplitKQ_hf_I14__hip_bfloat16N3c1013Float8_e4m3fnELi64ELi7ELi16ELi16ELi1ELi4EEviiiPKT0_S5_PT_PKfS9_ii
		.amdhsa_group_segment_fixed_size 0
		.amdhsa_private_segment_fixed_size 64
		.amdhsa_kernarg_size 320
		.amdhsa_user_sgpr_count 15
		.amdhsa_user_sgpr_dispatch_ptr 0
		.amdhsa_user_sgpr_queue_ptr 0
		.amdhsa_user_sgpr_kernarg_segment_ptr 1
		.amdhsa_user_sgpr_dispatch_id 0
		.amdhsa_user_sgpr_private_segment_size 0
		.amdhsa_wavefront_size32 1
		.amdhsa_uses_dynamic_stack 0
		.amdhsa_enable_private_segment 1
		.amdhsa_system_sgpr_workgroup_id_x 1
		.amdhsa_system_sgpr_workgroup_id_y 0
		.amdhsa_system_sgpr_workgroup_id_z 0
		.amdhsa_system_sgpr_workgroup_info 0
		.amdhsa_system_vgpr_workitem_id 0
		.amdhsa_next_free_vgpr 50
		.amdhsa_next_free_sgpr 34
		.amdhsa_reserve_vcc 1
		.amdhsa_float_round_mode_32 0
		.amdhsa_float_round_mode_16_64 0
		.amdhsa_float_denorm_mode_32 3
		.amdhsa_float_denorm_mode_16_64 3
		.amdhsa_dx10_clamp 1
		.amdhsa_ieee_mode 1
		.amdhsa_fp16_overflow 0
		.amdhsa_workgroup_processor_mode 1
		.amdhsa_memory_ordered 1
		.amdhsa_forward_progress 0
		.amdhsa_shared_vgpr_count 0
		.amdhsa_exception_fp_ieee_invalid_op 0
		.amdhsa_exception_fp_denorm_src 0
		.amdhsa_exception_fp_ieee_div_zero 0
		.amdhsa_exception_fp_ieee_overflow 0
		.amdhsa_exception_fp_ieee_underflow 0
		.amdhsa_exception_fp_ieee_inexact 0
		.amdhsa_exception_int_div_zero 0
	.end_amdhsa_kernel
	.section	.text._Z13wvSplitKQ_hf_I14__hip_bfloat16N3c1013Float8_e4m3fnELi64ELi7ELi16ELi16ELi1ELi4EEviiiPKT0_S5_PT_PKfS9_ii,"axG",@progbits,_Z13wvSplitKQ_hf_I14__hip_bfloat16N3c1013Float8_e4m3fnELi64ELi7ELi16ELi16ELi1ELi4EEviiiPKT0_S5_PT_PKfS9_ii,comdat
.Lfunc_end57:
	.size	_Z13wvSplitKQ_hf_I14__hip_bfloat16N3c1013Float8_e4m3fnELi64ELi7ELi16ELi16ELi1ELi4EEviiiPKT0_S5_PT_PKfS9_ii, .Lfunc_end57-_Z13wvSplitKQ_hf_I14__hip_bfloat16N3c1013Float8_e4m3fnELi64ELi7ELi16ELi16ELi1ELi4EEviiiPKT0_S5_PT_PKfS9_ii
                                        ; -- End function
	.section	.AMDGPU.csdata,"",@progbits
; Kernel info:
; codeLenInByte = 76
; NumSgprs: 36
; NumVgprs: 50
; ScratchSize: 64
; MemoryBound: 0
; FloatMode: 240
; IeeeMode: 1
; LDSByteSize: 0 bytes/workgroup (compile time only)
; SGPRBlocks: 4
; VGPRBlocks: 6
; NumSGPRsForWavesPerEU: 36
; NumVGPRsForWavesPerEU: 50
; Occupancy: 16
; WaveLimiterHint : 1
; COMPUTE_PGM_RSRC2:SCRATCH_EN: 1
; COMPUTE_PGM_RSRC2:USER_SGPR: 15
; COMPUTE_PGM_RSRC2:TRAP_HANDLER: 0
; COMPUTE_PGM_RSRC2:TGID_X_EN: 1
; COMPUTE_PGM_RSRC2:TGID_Y_EN: 0
; COMPUTE_PGM_RSRC2:TGID_Z_EN: 0
; COMPUTE_PGM_RSRC2:TIDIG_COMP_CNT: 0
	.section	.text._Z17wvSplitKQ_hf_sml_I14__hip_bfloat16N3c1015Float8_e4m3fnuzELi64ELi2ELi16ELi16ELi2ELi1EEviiiPKT0_S5_PT_PKfS9_ii,"axG",@progbits,_Z17wvSplitKQ_hf_sml_I14__hip_bfloat16N3c1015Float8_e4m3fnuzELi64ELi2ELi16ELi16ELi2ELi1EEviiiPKT0_S5_PT_PKfS9_ii,comdat
	.protected	_Z17wvSplitKQ_hf_sml_I14__hip_bfloat16N3c1015Float8_e4m3fnuzELi64ELi2ELi16ELi16ELi2ELi1EEviiiPKT0_S5_PT_PKfS9_ii ; -- Begin function _Z17wvSplitKQ_hf_sml_I14__hip_bfloat16N3c1015Float8_e4m3fnuzELi64ELi2ELi16ELi16ELi2ELi1EEviiiPKT0_S5_PT_PKfS9_ii
	.globl	_Z17wvSplitKQ_hf_sml_I14__hip_bfloat16N3c1015Float8_e4m3fnuzELi64ELi2ELi16ELi16ELi2ELi1EEviiiPKT0_S5_PT_PKfS9_ii
	.p2align	8
	.type	_Z17wvSplitKQ_hf_sml_I14__hip_bfloat16N3c1015Float8_e4m3fnuzELi64ELi2ELi16ELi16ELi2ELi1EEviiiPKT0_S5_PT_PKfS9_ii,@function
_Z17wvSplitKQ_hf_sml_I14__hip_bfloat16N3c1015Float8_e4m3fnuzELi64ELi2ELi16ELi16ELi2ELi1EEviiiPKT0_S5_PT_PKfS9_ii: ; @_Z17wvSplitKQ_hf_sml_I14__hip_bfloat16N3c1015Float8_e4m3fnuzELi64ELi2ELi16ELi16ELi2ELi1EEviiiPKT0_S5_PT_PKfS9_ii
; %bb.0:
	s_add_u32 s8, s0, 64
	s_addc_u32 s9, s1, 0
	s_getpc_b64 s[0:1]
	s_add_u32 s0, s0, __PRETTY_FUNCTION__._Z17wvSplitKQ_hf_sml_I14__hip_bfloat16N3c1015Float8_e4m3fnuzELi64ELi2ELi16ELi16ELi2ELi1EEviiiPKT0_S5_PT_PKfS9_ii@rel32@lo+4
	s_addc_u32 s1, s1, __PRETTY_FUNCTION__._Z17wvSplitKQ_hf_sml_I14__hip_bfloat16N3c1015Float8_e4m3fnuzELi64ELi2ELi16ELi16ELi2ELi1EEviiiPKT0_S5_PT_PKfS9_ii@rel32@hi+12
	v_dual_mov_b32 v0, 0x5c1 :: v_dual_mov_b32 v1, s0
	v_mov_b32_e32 v2, s1
	s_mov_b32 s32, 0
	s_getpc_b64 s[2:3]
	s_add_u32 s2, s2, __assert_fail@rel32@lo+4
	s_addc_u32 s3, s3, __assert_fail@rel32@hi+12
	s_delay_alu instid0(SALU_CYCLE_1)
	s_swappc_b64 s[30:31], s[2:3]
	.section	.rodata,"a",@progbits
	.p2align	6, 0x0
	.amdhsa_kernel _Z17wvSplitKQ_hf_sml_I14__hip_bfloat16N3c1015Float8_e4m3fnuzELi64ELi2ELi16ELi16ELi2ELi1EEviiiPKT0_S5_PT_PKfS9_ii
		.amdhsa_group_segment_fixed_size 0
		.amdhsa_private_segment_fixed_size 64
		.amdhsa_kernarg_size 320
		.amdhsa_user_sgpr_count 15
		.amdhsa_user_sgpr_dispatch_ptr 0
		.amdhsa_user_sgpr_queue_ptr 0
		.amdhsa_user_sgpr_kernarg_segment_ptr 1
		.amdhsa_user_sgpr_dispatch_id 0
		.amdhsa_user_sgpr_private_segment_size 0
		.amdhsa_wavefront_size32 1
		.amdhsa_uses_dynamic_stack 0
		.amdhsa_enable_private_segment 1
		.amdhsa_system_sgpr_workgroup_id_x 1
		.amdhsa_system_sgpr_workgroup_id_y 0
		.amdhsa_system_sgpr_workgroup_id_z 0
		.amdhsa_system_sgpr_workgroup_info 0
		.amdhsa_system_vgpr_workitem_id 0
		.amdhsa_next_free_vgpr 50
		.amdhsa_next_free_sgpr 34
		.amdhsa_reserve_vcc 1
		.amdhsa_float_round_mode_32 0
		.amdhsa_float_round_mode_16_64 0
		.amdhsa_float_denorm_mode_32 3
		.amdhsa_float_denorm_mode_16_64 3
		.amdhsa_dx10_clamp 1
		.amdhsa_ieee_mode 1
		.amdhsa_fp16_overflow 0
		.amdhsa_workgroup_processor_mode 1
		.amdhsa_memory_ordered 1
		.amdhsa_forward_progress 0
		.amdhsa_shared_vgpr_count 0
		.amdhsa_exception_fp_ieee_invalid_op 0
		.amdhsa_exception_fp_denorm_src 0
		.amdhsa_exception_fp_ieee_div_zero 0
		.amdhsa_exception_fp_ieee_overflow 0
		.amdhsa_exception_fp_ieee_underflow 0
		.amdhsa_exception_fp_ieee_inexact 0
		.amdhsa_exception_int_div_zero 0
	.end_amdhsa_kernel
	.section	.text._Z17wvSplitKQ_hf_sml_I14__hip_bfloat16N3c1015Float8_e4m3fnuzELi64ELi2ELi16ELi16ELi2ELi1EEviiiPKT0_S5_PT_PKfS9_ii,"axG",@progbits,_Z17wvSplitKQ_hf_sml_I14__hip_bfloat16N3c1015Float8_e4m3fnuzELi64ELi2ELi16ELi16ELi2ELi1EEviiiPKT0_S5_PT_PKfS9_ii,comdat
.Lfunc_end58:
	.size	_Z17wvSplitKQ_hf_sml_I14__hip_bfloat16N3c1015Float8_e4m3fnuzELi64ELi2ELi16ELi16ELi2ELi1EEviiiPKT0_S5_PT_PKfS9_ii, .Lfunc_end58-_Z17wvSplitKQ_hf_sml_I14__hip_bfloat16N3c1015Float8_e4m3fnuzELi64ELi2ELi16ELi16ELi2ELi1EEviiiPKT0_S5_PT_PKfS9_ii
                                        ; -- End function
	.section	.AMDGPU.csdata,"",@progbits
; Kernel info:
; codeLenInByte = 76
; NumSgprs: 36
; NumVgprs: 50
; ScratchSize: 64
; MemoryBound: 0
; FloatMode: 240
; IeeeMode: 1
; LDSByteSize: 0 bytes/workgroup (compile time only)
; SGPRBlocks: 4
; VGPRBlocks: 6
; NumSGPRsForWavesPerEU: 36
; NumVGPRsForWavesPerEU: 50
; Occupancy: 16
; WaveLimiterHint : 1
; COMPUTE_PGM_RSRC2:SCRATCH_EN: 1
; COMPUTE_PGM_RSRC2:USER_SGPR: 15
; COMPUTE_PGM_RSRC2:TRAP_HANDLER: 0
; COMPUTE_PGM_RSRC2:TGID_X_EN: 1
; COMPUTE_PGM_RSRC2:TGID_Y_EN: 0
; COMPUTE_PGM_RSRC2:TGID_Z_EN: 0
; COMPUTE_PGM_RSRC2:TIDIG_COMP_CNT: 0
	.section	.text._Z13wvSplitKQ_hf_I14__hip_bfloat16N3c1015Float8_e4m3fnuzELi64ELi2ELi16ELi16ELi2ELi1EEviiiPKT0_S5_PT_PKfS9_ii,"axG",@progbits,_Z13wvSplitKQ_hf_I14__hip_bfloat16N3c1015Float8_e4m3fnuzELi64ELi2ELi16ELi16ELi2ELi1EEviiiPKT0_S5_PT_PKfS9_ii,comdat
	.protected	_Z13wvSplitKQ_hf_I14__hip_bfloat16N3c1015Float8_e4m3fnuzELi64ELi2ELi16ELi16ELi2ELi1EEviiiPKT0_S5_PT_PKfS9_ii ; -- Begin function _Z13wvSplitKQ_hf_I14__hip_bfloat16N3c1015Float8_e4m3fnuzELi64ELi2ELi16ELi16ELi2ELi1EEviiiPKT0_S5_PT_PKfS9_ii
	.globl	_Z13wvSplitKQ_hf_I14__hip_bfloat16N3c1015Float8_e4m3fnuzELi64ELi2ELi16ELi16ELi2ELi1EEviiiPKT0_S5_PT_PKfS9_ii
	.p2align	8
	.type	_Z13wvSplitKQ_hf_I14__hip_bfloat16N3c1015Float8_e4m3fnuzELi64ELi2ELi16ELi16ELi2ELi1EEviiiPKT0_S5_PT_PKfS9_ii,@function
_Z13wvSplitKQ_hf_I14__hip_bfloat16N3c1015Float8_e4m3fnuzELi64ELi2ELi16ELi16ELi2ELi1EEviiiPKT0_S5_PT_PKfS9_ii: ; @_Z13wvSplitKQ_hf_I14__hip_bfloat16N3c1015Float8_e4m3fnuzELi64ELi2ELi16ELi16ELi2ELi1EEviiiPKT0_S5_PT_PKfS9_ii
; %bb.0:
	s_add_u32 s8, s0, 64
	s_addc_u32 s9, s1, 0
	s_getpc_b64 s[0:1]
	s_add_u32 s0, s0, __PRETTY_FUNCTION__._Z13wvSplitKQ_hf_I14__hip_bfloat16N3c1015Float8_e4m3fnuzELi64ELi2ELi16ELi16ELi2ELi1EEviiiPKT0_S5_PT_PKfS9_ii@rel32@lo+4
	s_addc_u32 s1, s1, __PRETTY_FUNCTION__._Z13wvSplitKQ_hf_I14__hip_bfloat16N3c1015Float8_e4m3fnuzELi64ELi2ELi16ELi16ELi2ELi1EEviiiPKT0_S5_PT_PKfS9_ii@rel32@hi+12
	v_dual_mov_b32 v0, 0x66e :: v_dual_mov_b32 v1, s0
	v_mov_b32_e32 v2, s1
	s_mov_b32 s32, 0
	s_getpc_b64 s[2:3]
	s_add_u32 s2, s2, __assert_fail@rel32@lo+4
	s_addc_u32 s3, s3, __assert_fail@rel32@hi+12
	s_delay_alu instid0(SALU_CYCLE_1)
	s_swappc_b64 s[30:31], s[2:3]
	.section	.rodata,"a",@progbits
	.p2align	6, 0x0
	.amdhsa_kernel _Z13wvSplitKQ_hf_I14__hip_bfloat16N3c1015Float8_e4m3fnuzELi64ELi2ELi16ELi16ELi2ELi1EEviiiPKT0_S5_PT_PKfS9_ii
		.amdhsa_group_segment_fixed_size 0
		.amdhsa_private_segment_fixed_size 64
		.amdhsa_kernarg_size 320
		.amdhsa_user_sgpr_count 15
		.amdhsa_user_sgpr_dispatch_ptr 0
		.amdhsa_user_sgpr_queue_ptr 0
		.amdhsa_user_sgpr_kernarg_segment_ptr 1
		.amdhsa_user_sgpr_dispatch_id 0
		.amdhsa_user_sgpr_private_segment_size 0
		.amdhsa_wavefront_size32 1
		.amdhsa_uses_dynamic_stack 0
		.amdhsa_enable_private_segment 1
		.amdhsa_system_sgpr_workgroup_id_x 1
		.amdhsa_system_sgpr_workgroup_id_y 0
		.amdhsa_system_sgpr_workgroup_id_z 0
		.amdhsa_system_sgpr_workgroup_info 0
		.amdhsa_system_vgpr_workitem_id 0
		.amdhsa_next_free_vgpr 50
		.amdhsa_next_free_sgpr 34
		.amdhsa_reserve_vcc 1
		.amdhsa_float_round_mode_32 0
		.amdhsa_float_round_mode_16_64 0
		.amdhsa_float_denorm_mode_32 3
		.amdhsa_float_denorm_mode_16_64 3
		.amdhsa_dx10_clamp 1
		.amdhsa_ieee_mode 1
		.amdhsa_fp16_overflow 0
		.amdhsa_workgroup_processor_mode 1
		.amdhsa_memory_ordered 1
		.amdhsa_forward_progress 0
		.amdhsa_shared_vgpr_count 0
		.amdhsa_exception_fp_ieee_invalid_op 0
		.amdhsa_exception_fp_denorm_src 0
		.amdhsa_exception_fp_ieee_div_zero 0
		.amdhsa_exception_fp_ieee_overflow 0
		.amdhsa_exception_fp_ieee_underflow 0
		.amdhsa_exception_fp_ieee_inexact 0
		.amdhsa_exception_int_div_zero 0
	.end_amdhsa_kernel
	.section	.text._Z13wvSplitKQ_hf_I14__hip_bfloat16N3c1015Float8_e4m3fnuzELi64ELi2ELi16ELi16ELi2ELi1EEviiiPKT0_S5_PT_PKfS9_ii,"axG",@progbits,_Z13wvSplitKQ_hf_I14__hip_bfloat16N3c1015Float8_e4m3fnuzELi64ELi2ELi16ELi16ELi2ELi1EEviiiPKT0_S5_PT_PKfS9_ii,comdat
.Lfunc_end59:
	.size	_Z13wvSplitKQ_hf_I14__hip_bfloat16N3c1015Float8_e4m3fnuzELi64ELi2ELi16ELi16ELi2ELi1EEviiiPKT0_S5_PT_PKfS9_ii, .Lfunc_end59-_Z13wvSplitKQ_hf_I14__hip_bfloat16N3c1015Float8_e4m3fnuzELi64ELi2ELi16ELi16ELi2ELi1EEviiiPKT0_S5_PT_PKfS9_ii
                                        ; -- End function
	.section	.AMDGPU.csdata,"",@progbits
; Kernel info:
; codeLenInByte = 76
; NumSgprs: 36
; NumVgprs: 50
; ScratchSize: 64
; MemoryBound: 0
; FloatMode: 240
; IeeeMode: 1
; LDSByteSize: 0 bytes/workgroup (compile time only)
; SGPRBlocks: 4
; VGPRBlocks: 6
; NumSGPRsForWavesPerEU: 36
; NumVGPRsForWavesPerEU: 50
; Occupancy: 16
; WaveLimiterHint : 1
; COMPUTE_PGM_RSRC2:SCRATCH_EN: 1
; COMPUTE_PGM_RSRC2:USER_SGPR: 15
; COMPUTE_PGM_RSRC2:TRAP_HANDLER: 0
; COMPUTE_PGM_RSRC2:TGID_X_EN: 1
; COMPUTE_PGM_RSRC2:TGID_Y_EN: 0
; COMPUTE_PGM_RSRC2:TGID_Z_EN: 0
; COMPUTE_PGM_RSRC2:TIDIG_COMP_CNT: 0
	.section	.text._Z17wvSplitKQ_hf_sml_I14__hip_bfloat16N3c1015Float8_e4m3fnuzELi64ELi2ELi16ELi16ELi2ELi2EEviiiPKT0_S5_PT_PKfS9_ii,"axG",@progbits,_Z17wvSplitKQ_hf_sml_I14__hip_bfloat16N3c1015Float8_e4m3fnuzELi64ELi2ELi16ELi16ELi2ELi2EEviiiPKT0_S5_PT_PKfS9_ii,comdat
	.protected	_Z17wvSplitKQ_hf_sml_I14__hip_bfloat16N3c1015Float8_e4m3fnuzELi64ELi2ELi16ELi16ELi2ELi2EEviiiPKT0_S5_PT_PKfS9_ii ; -- Begin function _Z17wvSplitKQ_hf_sml_I14__hip_bfloat16N3c1015Float8_e4m3fnuzELi64ELi2ELi16ELi16ELi2ELi2EEviiiPKT0_S5_PT_PKfS9_ii
	.globl	_Z17wvSplitKQ_hf_sml_I14__hip_bfloat16N3c1015Float8_e4m3fnuzELi64ELi2ELi16ELi16ELi2ELi2EEviiiPKT0_S5_PT_PKfS9_ii
	.p2align	8
	.type	_Z17wvSplitKQ_hf_sml_I14__hip_bfloat16N3c1015Float8_e4m3fnuzELi64ELi2ELi16ELi16ELi2ELi2EEviiiPKT0_S5_PT_PKfS9_ii,@function
_Z17wvSplitKQ_hf_sml_I14__hip_bfloat16N3c1015Float8_e4m3fnuzELi64ELi2ELi16ELi16ELi2ELi2EEviiiPKT0_S5_PT_PKfS9_ii: ; @_Z17wvSplitKQ_hf_sml_I14__hip_bfloat16N3c1015Float8_e4m3fnuzELi64ELi2ELi16ELi16ELi2ELi2EEviiiPKT0_S5_PT_PKfS9_ii
; %bb.0:
	s_add_u32 s8, s0, 64
	s_addc_u32 s9, s1, 0
	s_getpc_b64 s[0:1]
	s_add_u32 s0, s0, __PRETTY_FUNCTION__._Z17wvSplitKQ_hf_sml_I14__hip_bfloat16N3c1015Float8_e4m3fnuzELi64ELi2ELi16ELi16ELi2ELi2EEviiiPKT0_S5_PT_PKfS9_ii@rel32@lo+4
	s_addc_u32 s1, s1, __PRETTY_FUNCTION__._Z17wvSplitKQ_hf_sml_I14__hip_bfloat16N3c1015Float8_e4m3fnuzELi64ELi2ELi16ELi16ELi2ELi2EEviiiPKT0_S5_PT_PKfS9_ii@rel32@hi+12
	v_dual_mov_b32 v0, 0x5c1 :: v_dual_mov_b32 v1, s0
	v_mov_b32_e32 v2, s1
	s_mov_b32 s32, 0
	s_getpc_b64 s[2:3]
	s_add_u32 s2, s2, __assert_fail@rel32@lo+4
	s_addc_u32 s3, s3, __assert_fail@rel32@hi+12
	s_delay_alu instid0(SALU_CYCLE_1)
	s_swappc_b64 s[30:31], s[2:3]
	.section	.rodata,"a",@progbits
	.p2align	6, 0x0
	.amdhsa_kernel _Z17wvSplitKQ_hf_sml_I14__hip_bfloat16N3c1015Float8_e4m3fnuzELi64ELi2ELi16ELi16ELi2ELi2EEviiiPKT0_S5_PT_PKfS9_ii
		.amdhsa_group_segment_fixed_size 0
		.amdhsa_private_segment_fixed_size 64
		.amdhsa_kernarg_size 320
		.amdhsa_user_sgpr_count 15
		.amdhsa_user_sgpr_dispatch_ptr 0
		.amdhsa_user_sgpr_queue_ptr 0
		.amdhsa_user_sgpr_kernarg_segment_ptr 1
		.amdhsa_user_sgpr_dispatch_id 0
		.amdhsa_user_sgpr_private_segment_size 0
		.amdhsa_wavefront_size32 1
		.amdhsa_uses_dynamic_stack 0
		.amdhsa_enable_private_segment 1
		.amdhsa_system_sgpr_workgroup_id_x 1
		.amdhsa_system_sgpr_workgroup_id_y 0
		.amdhsa_system_sgpr_workgroup_id_z 0
		.amdhsa_system_sgpr_workgroup_info 0
		.amdhsa_system_vgpr_workitem_id 0
		.amdhsa_next_free_vgpr 50
		.amdhsa_next_free_sgpr 34
		.amdhsa_reserve_vcc 1
		.amdhsa_float_round_mode_32 0
		.amdhsa_float_round_mode_16_64 0
		.amdhsa_float_denorm_mode_32 3
		.amdhsa_float_denorm_mode_16_64 3
		.amdhsa_dx10_clamp 1
		.amdhsa_ieee_mode 1
		.amdhsa_fp16_overflow 0
		.amdhsa_workgroup_processor_mode 1
		.amdhsa_memory_ordered 1
		.amdhsa_forward_progress 0
		.amdhsa_shared_vgpr_count 0
		.amdhsa_exception_fp_ieee_invalid_op 0
		.amdhsa_exception_fp_denorm_src 0
		.amdhsa_exception_fp_ieee_div_zero 0
		.amdhsa_exception_fp_ieee_overflow 0
		.amdhsa_exception_fp_ieee_underflow 0
		.amdhsa_exception_fp_ieee_inexact 0
		.amdhsa_exception_int_div_zero 0
	.end_amdhsa_kernel
	.section	.text._Z17wvSplitKQ_hf_sml_I14__hip_bfloat16N3c1015Float8_e4m3fnuzELi64ELi2ELi16ELi16ELi2ELi2EEviiiPKT0_S5_PT_PKfS9_ii,"axG",@progbits,_Z17wvSplitKQ_hf_sml_I14__hip_bfloat16N3c1015Float8_e4m3fnuzELi64ELi2ELi16ELi16ELi2ELi2EEviiiPKT0_S5_PT_PKfS9_ii,comdat
.Lfunc_end60:
	.size	_Z17wvSplitKQ_hf_sml_I14__hip_bfloat16N3c1015Float8_e4m3fnuzELi64ELi2ELi16ELi16ELi2ELi2EEviiiPKT0_S5_PT_PKfS9_ii, .Lfunc_end60-_Z17wvSplitKQ_hf_sml_I14__hip_bfloat16N3c1015Float8_e4m3fnuzELi64ELi2ELi16ELi16ELi2ELi2EEviiiPKT0_S5_PT_PKfS9_ii
                                        ; -- End function
	.section	.AMDGPU.csdata,"",@progbits
; Kernel info:
; codeLenInByte = 76
; NumSgprs: 36
; NumVgprs: 50
; ScratchSize: 64
; MemoryBound: 0
; FloatMode: 240
; IeeeMode: 1
; LDSByteSize: 0 bytes/workgroup (compile time only)
; SGPRBlocks: 4
; VGPRBlocks: 6
; NumSGPRsForWavesPerEU: 36
; NumVGPRsForWavesPerEU: 50
; Occupancy: 16
; WaveLimiterHint : 1
; COMPUTE_PGM_RSRC2:SCRATCH_EN: 1
; COMPUTE_PGM_RSRC2:USER_SGPR: 15
; COMPUTE_PGM_RSRC2:TRAP_HANDLER: 0
; COMPUTE_PGM_RSRC2:TGID_X_EN: 1
; COMPUTE_PGM_RSRC2:TGID_Y_EN: 0
; COMPUTE_PGM_RSRC2:TGID_Z_EN: 0
; COMPUTE_PGM_RSRC2:TIDIG_COMP_CNT: 0
	.section	.text._Z13wvSplitKQ_hf_I14__hip_bfloat16N3c1015Float8_e4m3fnuzELi64ELi2ELi16ELi16ELi2ELi2EEviiiPKT0_S5_PT_PKfS9_ii,"axG",@progbits,_Z13wvSplitKQ_hf_I14__hip_bfloat16N3c1015Float8_e4m3fnuzELi64ELi2ELi16ELi16ELi2ELi2EEviiiPKT0_S5_PT_PKfS9_ii,comdat
	.protected	_Z13wvSplitKQ_hf_I14__hip_bfloat16N3c1015Float8_e4m3fnuzELi64ELi2ELi16ELi16ELi2ELi2EEviiiPKT0_S5_PT_PKfS9_ii ; -- Begin function _Z13wvSplitKQ_hf_I14__hip_bfloat16N3c1015Float8_e4m3fnuzELi64ELi2ELi16ELi16ELi2ELi2EEviiiPKT0_S5_PT_PKfS9_ii
	.globl	_Z13wvSplitKQ_hf_I14__hip_bfloat16N3c1015Float8_e4m3fnuzELi64ELi2ELi16ELi16ELi2ELi2EEviiiPKT0_S5_PT_PKfS9_ii
	.p2align	8
	.type	_Z13wvSplitKQ_hf_I14__hip_bfloat16N3c1015Float8_e4m3fnuzELi64ELi2ELi16ELi16ELi2ELi2EEviiiPKT0_S5_PT_PKfS9_ii,@function
_Z13wvSplitKQ_hf_I14__hip_bfloat16N3c1015Float8_e4m3fnuzELi64ELi2ELi16ELi16ELi2ELi2EEviiiPKT0_S5_PT_PKfS9_ii: ; @_Z13wvSplitKQ_hf_I14__hip_bfloat16N3c1015Float8_e4m3fnuzELi64ELi2ELi16ELi16ELi2ELi2EEviiiPKT0_S5_PT_PKfS9_ii
; %bb.0:
	s_add_u32 s8, s0, 64
	s_addc_u32 s9, s1, 0
	s_getpc_b64 s[0:1]
	s_add_u32 s0, s0, __PRETTY_FUNCTION__._Z13wvSplitKQ_hf_I14__hip_bfloat16N3c1015Float8_e4m3fnuzELi64ELi2ELi16ELi16ELi2ELi2EEviiiPKT0_S5_PT_PKfS9_ii@rel32@lo+4
	s_addc_u32 s1, s1, __PRETTY_FUNCTION__._Z13wvSplitKQ_hf_I14__hip_bfloat16N3c1015Float8_e4m3fnuzELi64ELi2ELi16ELi16ELi2ELi2EEviiiPKT0_S5_PT_PKfS9_ii@rel32@hi+12
	v_dual_mov_b32 v0, 0x66e :: v_dual_mov_b32 v1, s0
	v_mov_b32_e32 v2, s1
	s_mov_b32 s32, 0
	s_getpc_b64 s[2:3]
	s_add_u32 s2, s2, __assert_fail@rel32@lo+4
	s_addc_u32 s3, s3, __assert_fail@rel32@hi+12
	s_delay_alu instid0(SALU_CYCLE_1)
	s_swappc_b64 s[30:31], s[2:3]
	.section	.rodata,"a",@progbits
	.p2align	6, 0x0
	.amdhsa_kernel _Z13wvSplitKQ_hf_I14__hip_bfloat16N3c1015Float8_e4m3fnuzELi64ELi2ELi16ELi16ELi2ELi2EEviiiPKT0_S5_PT_PKfS9_ii
		.amdhsa_group_segment_fixed_size 0
		.amdhsa_private_segment_fixed_size 64
		.amdhsa_kernarg_size 320
		.amdhsa_user_sgpr_count 15
		.amdhsa_user_sgpr_dispatch_ptr 0
		.amdhsa_user_sgpr_queue_ptr 0
		.amdhsa_user_sgpr_kernarg_segment_ptr 1
		.amdhsa_user_sgpr_dispatch_id 0
		.amdhsa_user_sgpr_private_segment_size 0
		.amdhsa_wavefront_size32 1
		.amdhsa_uses_dynamic_stack 0
		.amdhsa_enable_private_segment 1
		.amdhsa_system_sgpr_workgroup_id_x 1
		.amdhsa_system_sgpr_workgroup_id_y 0
		.amdhsa_system_sgpr_workgroup_id_z 0
		.amdhsa_system_sgpr_workgroup_info 0
		.amdhsa_system_vgpr_workitem_id 0
		.amdhsa_next_free_vgpr 50
		.amdhsa_next_free_sgpr 34
		.amdhsa_reserve_vcc 1
		.amdhsa_float_round_mode_32 0
		.amdhsa_float_round_mode_16_64 0
		.amdhsa_float_denorm_mode_32 3
		.amdhsa_float_denorm_mode_16_64 3
		.amdhsa_dx10_clamp 1
		.amdhsa_ieee_mode 1
		.amdhsa_fp16_overflow 0
		.amdhsa_workgroup_processor_mode 1
		.amdhsa_memory_ordered 1
		.amdhsa_forward_progress 0
		.amdhsa_shared_vgpr_count 0
		.amdhsa_exception_fp_ieee_invalid_op 0
		.amdhsa_exception_fp_denorm_src 0
		.amdhsa_exception_fp_ieee_div_zero 0
		.amdhsa_exception_fp_ieee_overflow 0
		.amdhsa_exception_fp_ieee_underflow 0
		.amdhsa_exception_fp_ieee_inexact 0
		.amdhsa_exception_int_div_zero 0
	.end_amdhsa_kernel
	.section	.text._Z13wvSplitKQ_hf_I14__hip_bfloat16N3c1015Float8_e4m3fnuzELi64ELi2ELi16ELi16ELi2ELi2EEviiiPKT0_S5_PT_PKfS9_ii,"axG",@progbits,_Z13wvSplitKQ_hf_I14__hip_bfloat16N3c1015Float8_e4m3fnuzELi64ELi2ELi16ELi16ELi2ELi2EEviiiPKT0_S5_PT_PKfS9_ii,comdat
.Lfunc_end61:
	.size	_Z13wvSplitKQ_hf_I14__hip_bfloat16N3c1015Float8_e4m3fnuzELi64ELi2ELi16ELi16ELi2ELi2EEviiiPKT0_S5_PT_PKfS9_ii, .Lfunc_end61-_Z13wvSplitKQ_hf_I14__hip_bfloat16N3c1015Float8_e4m3fnuzELi64ELi2ELi16ELi16ELi2ELi2EEviiiPKT0_S5_PT_PKfS9_ii
                                        ; -- End function
	.section	.AMDGPU.csdata,"",@progbits
; Kernel info:
; codeLenInByte = 76
; NumSgprs: 36
; NumVgprs: 50
; ScratchSize: 64
; MemoryBound: 0
; FloatMode: 240
; IeeeMode: 1
; LDSByteSize: 0 bytes/workgroup (compile time only)
; SGPRBlocks: 4
; VGPRBlocks: 6
; NumSGPRsForWavesPerEU: 36
; NumVGPRsForWavesPerEU: 50
; Occupancy: 16
; WaveLimiterHint : 1
; COMPUTE_PGM_RSRC2:SCRATCH_EN: 1
; COMPUTE_PGM_RSRC2:USER_SGPR: 15
; COMPUTE_PGM_RSRC2:TRAP_HANDLER: 0
; COMPUTE_PGM_RSRC2:TGID_X_EN: 1
; COMPUTE_PGM_RSRC2:TGID_Y_EN: 0
; COMPUTE_PGM_RSRC2:TGID_Z_EN: 0
; COMPUTE_PGM_RSRC2:TIDIG_COMP_CNT: 0
	.section	.text._Z17wvSplitKQ_hf_sml_I14__hip_bfloat16N3c1015Float8_e4m3fnuzELi64ELi4ELi16ELi16ELi1ELi3EEviiiPKT0_S5_PT_PKfS9_ii,"axG",@progbits,_Z17wvSplitKQ_hf_sml_I14__hip_bfloat16N3c1015Float8_e4m3fnuzELi64ELi4ELi16ELi16ELi1ELi3EEviiiPKT0_S5_PT_PKfS9_ii,comdat
	.protected	_Z17wvSplitKQ_hf_sml_I14__hip_bfloat16N3c1015Float8_e4m3fnuzELi64ELi4ELi16ELi16ELi1ELi3EEviiiPKT0_S5_PT_PKfS9_ii ; -- Begin function _Z17wvSplitKQ_hf_sml_I14__hip_bfloat16N3c1015Float8_e4m3fnuzELi64ELi4ELi16ELi16ELi1ELi3EEviiiPKT0_S5_PT_PKfS9_ii
	.globl	_Z17wvSplitKQ_hf_sml_I14__hip_bfloat16N3c1015Float8_e4m3fnuzELi64ELi4ELi16ELi16ELi1ELi3EEviiiPKT0_S5_PT_PKfS9_ii
	.p2align	8
	.type	_Z17wvSplitKQ_hf_sml_I14__hip_bfloat16N3c1015Float8_e4m3fnuzELi64ELi4ELi16ELi16ELi1ELi3EEviiiPKT0_S5_PT_PKfS9_ii,@function
_Z17wvSplitKQ_hf_sml_I14__hip_bfloat16N3c1015Float8_e4m3fnuzELi64ELi4ELi16ELi16ELi1ELi3EEviiiPKT0_S5_PT_PKfS9_ii: ; @_Z17wvSplitKQ_hf_sml_I14__hip_bfloat16N3c1015Float8_e4m3fnuzELi64ELi4ELi16ELi16ELi1ELi3EEviiiPKT0_S5_PT_PKfS9_ii
; %bb.0:
	s_add_u32 s8, s0, 64
	s_addc_u32 s9, s1, 0
	s_getpc_b64 s[0:1]
	s_add_u32 s0, s0, __PRETTY_FUNCTION__._Z17wvSplitKQ_hf_sml_I14__hip_bfloat16N3c1015Float8_e4m3fnuzELi64ELi4ELi16ELi16ELi1ELi3EEviiiPKT0_S5_PT_PKfS9_ii@rel32@lo+4
	s_addc_u32 s1, s1, __PRETTY_FUNCTION__._Z17wvSplitKQ_hf_sml_I14__hip_bfloat16N3c1015Float8_e4m3fnuzELi64ELi4ELi16ELi16ELi1ELi3EEviiiPKT0_S5_PT_PKfS9_ii@rel32@hi+12
	v_dual_mov_b32 v0, 0x5c1 :: v_dual_mov_b32 v1, s0
	v_mov_b32_e32 v2, s1
	s_mov_b32 s32, 0
	s_getpc_b64 s[2:3]
	s_add_u32 s2, s2, __assert_fail@rel32@lo+4
	s_addc_u32 s3, s3, __assert_fail@rel32@hi+12
	s_delay_alu instid0(SALU_CYCLE_1)
	s_swappc_b64 s[30:31], s[2:3]
	.section	.rodata,"a",@progbits
	.p2align	6, 0x0
	.amdhsa_kernel _Z17wvSplitKQ_hf_sml_I14__hip_bfloat16N3c1015Float8_e4m3fnuzELi64ELi4ELi16ELi16ELi1ELi3EEviiiPKT0_S5_PT_PKfS9_ii
		.amdhsa_group_segment_fixed_size 0
		.amdhsa_private_segment_fixed_size 64
		.amdhsa_kernarg_size 320
		.amdhsa_user_sgpr_count 15
		.amdhsa_user_sgpr_dispatch_ptr 0
		.amdhsa_user_sgpr_queue_ptr 0
		.amdhsa_user_sgpr_kernarg_segment_ptr 1
		.amdhsa_user_sgpr_dispatch_id 0
		.amdhsa_user_sgpr_private_segment_size 0
		.amdhsa_wavefront_size32 1
		.amdhsa_uses_dynamic_stack 0
		.amdhsa_enable_private_segment 1
		.amdhsa_system_sgpr_workgroup_id_x 1
		.amdhsa_system_sgpr_workgroup_id_y 0
		.amdhsa_system_sgpr_workgroup_id_z 0
		.amdhsa_system_sgpr_workgroup_info 0
		.amdhsa_system_vgpr_workitem_id 0
		.amdhsa_next_free_vgpr 50
		.amdhsa_next_free_sgpr 34
		.amdhsa_reserve_vcc 1
		.amdhsa_float_round_mode_32 0
		.amdhsa_float_round_mode_16_64 0
		.amdhsa_float_denorm_mode_32 3
		.amdhsa_float_denorm_mode_16_64 3
		.amdhsa_dx10_clamp 1
		.amdhsa_ieee_mode 1
		.amdhsa_fp16_overflow 0
		.amdhsa_workgroup_processor_mode 1
		.amdhsa_memory_ordered 1
		.amdhsa_forward_progress 0
		.amdhsa_shared_vgpr_count 0
		.amdhsa_exception_fp_ieee_invalid_op 0
		.amdhsa_exception_fp_denorm_src 0
		.amdhsa_exception_fp_ieee_div_zero 0
		.amdhsa_exception_fp_ieee_overflow 0
		.amdhsa_exception_fp_ieee_underflow 0
		.amdhsa_exception_fp_ieee_inexact 0
		.amdhsa_exception_int_div_zero 0
	.end_amdhsa_kernel
	.section	.text._Z17wvSplitKQ_hf_sml_I14__hip_bfloat16N3c1015Float8_e4m3fnuzELi64ELi4ELi16ELi16ELi1ELi3EEviiiPKT0_S5_PT_PKfS9_ii,"axG",@progbits,_Z17wvSplitKQ_hf_sml_I14__hip_bfloat16N3c1015Float8_e4m3fnuzELi64ELi4ELi16ELi16ELi1ELi3EEviiiPKT0_S5_PT_PKfS9_ii,comdat
.Lfunc_end62:
	.size	_Z17wvSplitKQ_hf_sml_I14__hip_bfloat16N3c1015Float8_e4m3fnuzELi64ELi4ELi16ELi16ELi1ELi3EEviiiPKT0_S5_PT_PKfS9_ii, .Lfunc_end62-_Z17wvSplitKQ_hf_sml_I14__hip_bfloat16N3c1015Float8_e4m3fnuzELi64ELi4ELi16ELi16ELi1ELi3EEviiiPKT0_S5_PT_PKfS9_ii
                                        ; -- End function
	.section	.AMDGPU.csdata,"",@progbits
; Kernel info:
; codeLenInByte = 76
; NumSgprs: 36
; NumVgprs: 50
; ScratchSize: 64
; MemoryBound: 0
; FloatMode: 240
; IeeeMode: 1
; LDSByteSize: 0 bytes/workgroup (compile time only)
; SGPRBlocks: 4
; VGPRBlocks: 6
; NumSGPRsForWavesPerEU: 36
; NumVGPRsForWavesPerEU: 50
; Occupancy: 16
; WaveLimiterHint : 1
; COMPUTE_PGM_RSRC2:SCRATCH_EN: 1
; COMPUTE_PGM_RSRC2:USER_SGPR: 15
; COMPUTE_PGM_RSRC2:TRAP_HANDLER: 0
; COMPUTE_PGM_RSRC2:TGID_X_EN: 1
; COMPUTE_PGM_RSRC2:TGID_Y_EN: 0
; COMPUTE_PGM_RSRC2:TGID_Z_EN: 0
; COMPUTE_PGM_RSRC2:TIDIG_COMP_CNT: 0
	.section	.text._Z13wvSplitKQ_hf_I14__hip_bfloat16N3c1015Float8_e4m3fnuzELi64ELi7ELi16ELi16ELi1ELi3EEviiiPKT0_S5_PT_PKfS9_ii,"axG",@progbits,_Z13wvSplitKQ_hf_I14__hip_bfloat16N3c1015Float8_e4m3fnuzELi64ELi7ELi16ELi16ELi1ELi3EEviiiPKT0_S5_PT_PKfS9_ii,comdat
	.protected	_Z13wvSplitKQ_hf_I14__hip_bfloat16N3c1015Float8_e4m3fnuzELi64ELi7ELi16ELi16ELi1ELi3EEviiiPKT0_S5_PT_PKfS9_ii ; -- Begin function _Z13wvSplitKQ_hf_I14__hip_bfloat16N3c1015Float8_e4m3fnuzELi64ELi7ELi16ELi16ELi1ELi3EEviiiPKT0_S5_PT_PKfS9_ii
	.globl	_Z13wvSplitKQ_hf_I14__hip_bfloat16N3c1015Float8_e4m3fnuzELi64ELi7ELi16ELi16ELi1ELi3EEviiiPKT0_S5_PT_PKfS9_ii
	.p2align	8
	.type	_Z13wvSplitKQ_hf_I14__hip_bfloat16N3c1015Float8_e4m3fnuzELi64ELi7ELi16ELi16ELi1ELi3EEviiiPKT0_S5_PT_PKfS9_ii,@function
_Z13wvSplitKQ_hf_I14__hip_bfloat16N3c1015Float8_e4m3fnuzELi64ELi7ELi16ELi16ELi1ELi3EEviiiPKT0_S5_PT_PKfS9_ii: ; @_Z13wvSplitKQ_hf_I14__hip_bfloat16N3c1015Float8_e4m3fnuzELi64ELi7ELi16ELi16ELi1ELi3EEviiiPKT0_S5_PT_PKfS9_ii
; %bb.0:
	s_add_u32 s8, s0, 64
	s_addc_u32 s9, s1, 0
	s_getpc_b64 s[0:1]
	s_add_u32 s0, s0, __PRETTY_FUNCTION__._Z13wvSplitKQ_hf_I14__hip_bfloat16N3c1015Float8_e4m3fnuzELi64ELi7ELi16ELi16ELi1ELi3EEviiiPKT0_S5_PT_PKfS9_ii@rel32@lo+4
	s_addc_u32 s1, s1, __PRETTY_FUNCTION__._Z13wvSplitKQ_hf_I14__hip_bfloat16N3c1015Float8_e4m3fnuzELi64ELi7ELi16ELi16ELi1ELi3EEviiiPKT0_S5_PT_PKfS9_ii@rel32@hi+12
	v_dual_mov_b32 v0, 0x66e :: v_dual_mov_b32 v1, s0
	v_mov_b32_e32 v2, s1
	s_mov_b32 s32, 0
	s_getpc_b64 s[2:3]
	s_add_u32 s2, s2, __assert_fail@rel32@lo+4
	s_addc_u32 s3, s3, __assert_fail@rel32@hi+12
	s_delay_alu instid0(SALU_CYCLE_1)
	s_swappc_b64 s[30:31], s[2:3]
	.section	.rodata,"a",@progbits
	.p2align	6, 0x0
	.amdhsa_kernel _Z13wvSplitKQ_hf_I14__hip_bfloat16N3c1015Float8_e4m3fnuzELi64ELi7ELi16ELi16ELi1ELi3EEviiiPKT0_S5_PT_PKfS9_ii
		.amdhsa_group_segment_fixed_size 0
		.amdhsa_private_segment_fixed_size 64
		.amdhsa_kernarg_size 320
		.amdhsa_user_sgpr_count 15
		.amdhsa_user_sgpr_dispatch_ptr 0
		.amdhsa_user_sgpr_queue_ptr 0
		.amdhsa_user_sgpr_kernarg_segment_ptr 1
		.amdhsa_user_sgpr_dispatch_id 0
		.amdhsa_user_sgpr_private_segment_size 0
		.amdhsa_wavefront_size32 1
		.amdhsa_uses_dynamic_stack 0
		.amdhsa_enable_private_segment 1
		.amdhsa_system_sgpr_workgroup_id_x 1
		.amdhsa_system_sgpr_workgroup_id_y 0
		.amdhsa_system_sgpr_workgroup_id_z 0
		.amdhsa_system_sgpr_workgroup_info 0
		.amdhsa_system_vgpr_workitem_id 0
		.amdhsa_next_free_vgpr 50
		.amdhsa_next_free_sgpr 34
		.amdhsa_reserve_vcc 1
		.amdhsa_float_round_mode_32 0
		.amdhsa_float_round_mode_16_64 0
		.amdhsa_float_denorm_mode_32 3
		.amdhsa_float_denorm_mode_16_64 3
		.amdhsa_dx10_clamp 1
		.amdhsa_ieee_mode 1
		.amdhsa_fp16_overflow 0
		.amdhsa_workgroup_processor_mode 1
		.amdhsa_memory_ordered 1
		.amdhsa_forward_progress 0
		.amdhsa_shared_vgpr_count 0
		.amdhsa_exception_fp_ieee_invalid_op 0
		.amdhsa_exception_fp_denorm_src 0
		.amdhsa_exception_fp_ieee_div_zero 0
		.amdhsa_exception_fp_ieee_overflow 0
		.amdhsa_exception_fp_ieee_underflow 0
		.amdhsa_exception_fp_ieee_inexact 0
		.amdhsa_exception_int_div_zero 0
	.end_amdhsa_kernel
	.section	.text._Z13wvSplitKQ_hf_I14__hip_bfloat16N3c1015Float8_e4m3fnuzELi64ELi7ELi16ELi16ELi1ELi3EEviiiPKT0_S5_PT_PKfS9_ii,"axG",@progbits,_Z13wvSplitKQ_hf_I14__hip_bfloat16N3c1015Float8_e4m3fnuzELi64ELi7ELi16ELi16ELi1ELi3EEviiiPKT0_S5_PT_PKfS9_ii,comdat
.Lfunc_end63:
	.size	_Z13wvSplitKQ_hf_I14__hip_bfloat16N3c1015Float8_e4m3fnuzELi64ELi7ELi16ELi16ELi1ELi3EEviiiPKT0_S5_PT_PKfS9_ii, .Lfunc_end63-_Z13wvSplitKQ_hf_I14__hip_bfloat16N3c1015Float8_e4m3fnuzELi64ELi7ELi16ELi16ELi1ELi3EEviiiPKT0_S5_PT_PKfS9_ii
                                        ; -- End function
	.section	.AMDGPU.csdata,"",@progbits
; Kernel info:
; codeLenInByte = 76
; NumSgprs: 36
; NumVgprs: 50
; ScratchSize: 64
; MemoryBound: 0
; FloatMode: 240
; IeeeMode: 1
; LDSByteSize: 0 bytes/workgroup (compile time only)
; SGPRBlocks: 4
; VGPRBlocks: 6
; NumSGPRsForWavesPerEU: 36
; NumVGPRsForWavesPerEU: 50
; Occupancy: 16
; WaveLimiterHint : 1
; COMPUTE_PGM_RSRC2:SCRATCH_EN: 1
; COMPUTE_PGM_RSRC2:USER_SGPR: 15
; COMPUTE_PGM_RSRC2:TRAP_HANDLER: 0
; COMPUTE_PGM_RSRC2:TGID_X_EN: 1
; COMPUTE_PGM_RSRC2:TGID_Y_EN: 0
; COMPUTE_PGM_RSRC2:TGID_Z_EN: 0
; COMPUTE_PGM_RSRC2:TIDIG_COMP_CNT: 0
	.section	.text._Z17wvSplitKQ_hf_sml_I14__hip_bfloat16N3c1015Float8_e4m3fnuzELi64ELi4ELi16ELi16ELi1ELi4EEviiiPKT0_S5_PT_PKfS9_ii,"axG",@progbits,_Z17wvSplitKQ_hf_sml_I14__hip_bfloat16N3c1015Float8_e4m3fnuzELi64ELi4ELi16ELi16ELi1ELi4EEviiiPKT0_S5_PT_PKfS9_ii,comdat
	.protected	_Z17wvSplitKQ_hf_sml_I14__hip_bfloat16N3c1015Float8_e4m3fnuzELi64ELi4ELi16ELi16ELi1ELi4EEviiiPKT0_S5_PT_PKfS9_ii ; -- Begin function _Z17wvSplitKQ_hf_sml_I14__hip_bfloat16N3c1015Float8_e4m3fnuzELi64ELi4ELi16ELi16ELi1ELi4EEviiiPKT0_S5_PT_PKfS9_ii
	.globl	_Z17wvSplitKQ_hf_sml_I14__hip_bfloat16N3c1015Float8_e4m3fnuzELi64ELi4ELi16ELi16ELi1ELi4EEviiiPKT0_S5_PT_PKfS9_ii
	.p2align	8
	.type	_Z17wvSplitKQ_hf_sml_I14__hip_bfloat16N3c1015Float8_e4m3fnuzELi64ELi4ELi16ELi16ELi1ELi4EEviiiPKT0_S5_PT_PKfS9_ii,@function
_Z17wvSplitKQ_hf_sml_I14__hip_bfloat16N3c1015Float8_e4m3fnuzELi64ELi4ELi16ELi16ELi1ELi4EEviiiPKT0_S5_PT_PKfS9_ii: ; @_Z17wvSplitKQ_hf_sml_I14__hip_bfloat16N3c1015Float8_e4m3fnuzELi64ELi4ELi16ELi16ELi1ELi4EEviiiPKT0_S5_PT_PKfS9_ii
; %bb.0:
	s_add_u32 s8, s0, 64
	s_addc_u32 s9, s1, 0
	s_getpc_b64 s[0:1]
	s_add_u32 s0, s0, __PRETTY_FUNCTION__._Z17wvSplitKQ_hf_sml_I14__hip_bfloat16N3c1015Float8_e4m3fnuzELi64ELi4ELi16ELi16ELi1ELi4EEviiiPKT0_S5_PT_PKfS9_ii@rel32@lo+4
	s_addc_u32 s1, s1, __PRETTY_FUNCTION__._Z17wvSplitKQ_hf_sml_I14__hip_bfloat16N3c1015Float8_e4m3fnuzELi64ELi4ELi16ELi16ELi1ELi4EEviiiPKT0_S5_PT_PKfS9_ii@rel32@hi+12
	v_dual_mov_b32 v0, 0x5c1 :: v_dual_mov_b32 v1, s0
	v_mov_b32_e32 v2, s1
	s_mov_b32 s32, 0
	s_getpc_b64 s[2:3]
	s_add_u32 s2, s2, __assert_fail@rel32@lo+4
	s_addc_u32 s3, s3, __assert_fail@rel32@hi+12
	s_delay_alu instid0(SALU_CYCLE_1)
	s_swappc_b64 s[30:31], s[2:3]
	.section	.rodata,"a",@progbits
	.p2align	6, 0x0
	.amdhsa_kernel _Z17wvSplitKQ_hf_sml_I14__hip_bfloat16N3c1015Float8_e4m3fnuzELi64ELi4ELi16ELi16ELi1ELi4EEviiiPKT0_S5_PT_PKfS9_ii
		.amdhsa_group_segment_fixed_size 0
		.amdhsa_private_segment_fixed_size 64
		.amdhsa_kernarg_size 320
		.amdhsa_user_sgpr_count 15
		.amdhsa_user_sgpr_dispatch_ptr 0
		.amdhsa_user_sgpr_queue_ptr 0
		.amdhsa_user_sgpr_kernarg_segment_ptr 1
		.amdhsa_user_sgpr_dispatch_id 0
		.amdhsa_user_sgpr_private_segment_size 0
		.amdhsa_wavefront_size32 1
		.amdhsa_uses_dynamic_stack 0
		.amdhsa_enable_private_segment 1
		.amdhsa_system_sgpr_workgroup_id_x 1
		.amdhsa_system_sgpr_workgroup_id_y 0
		.amdhsa_system_sgpr_workgroup_id_z 0
		.amdhsa_system_sgpr_workgroup_info 0
		.amdhsa_system_vgpr_workitem_id 0
		.amdhsa_next_free_vgpr 50
		.amdhsa_next_free_sgpr 34
		.amdhsa_reserve_vcc 1
		.amdhsa_float_round_mode_32 0
		.amdhsa_float_round_mode_16_64 0
		.amdhsa_float_denorm_mode_32 3
		.amdhsa_float_denorm_mode_16_64 3
		.amdhsa_dx10_clamp 1
		.amdhsa_ieee_mode 1
		.amdhsa_fp16_overflow 0
		.amdhsa_workgroup_processor_mode 1
		.amdhsa_memory_ordered 1
		.amdhsa_forward_progress 0
		.amdhsa_shared_vgpr_count 0
		.amdhsa_exception_fp_ieee_invalid_op 0
		.amdhsa_exception_fp_denorm_src 0
		.amdhsa_exception_fp_ieee_div_zero 0
		.amdhsa_exception_fp_ieee_overflow 0
		.amdhsa_exception_fp_ieee_underflow 0
		.amdhsa_exception_fp_ieee_inexact 0
		.amdhsa_exception_int_div_zero 0
	.end_amdhsa_kernel
	.section	.text._Z17wvSplitKQ_hf_sml_I14__hip_bfloat16N3c1015Float8_e4m3fnuzELi64ELi4ELi16ELi16ELi1ELi4EEviiiPKT0_S5_PT_PKfS9_ii,"axG",@progbits,_Z17wvSplitKQ_hf_sml_I14__hip_bfloat16N3c1015Float8_e4m3fnuzELi64ELi4ELi16ELi16ELi1ELi4EEviiiPKT0_S5_PT_PKfS9_ii,comdat
.Lfunc_end64:
	.size	_Z17wvSplitKQ_hf_sml_I14__hip_bfloat16N3c1015Float8_e4m3fnuzELi64ELi4ELi16ELi16ELi1ELi4EEviiiPKT0_S5_PT_PKfS9_ii, .Lfunc_end64-_Z17wvSplitKQ_hf_sml_I14__hip_bfloat16N3c1015Float8_e4m3fnuzELi64ELi4ELi16ELi16ELi1ELi4EEviiiPKT0_S5_PT_PKfS9_ii
                                        ; -- End function
	.section	.AMDGPU.csdata,"",@progbits
; Kernel info:
; codeLenInByte = 76
; NumSgprs: 36
; NumVgprs: 50
; ScratchSize: 64
; MemoryBound: 0
; FloatMode: 240
; IeeeMode: 1
; LDSByteSize: 0 bytes/workgroup (compile time only)
; SGPRBlocks: 4
; VGPRBlocks: 6
; NumSGPRsForWavesPerEU: 36
; NumVGPRsForWavesPerEU: 50
; Occupancy: 16
; WaveLimiterHint : 1
; COMPUTE_PGM_RSRC2:SCRATCH_EN: 1
; COMPUTE_PGM_RSRC2:USER_SGPR: 15
; COMPUTE_PGM_RSRC2:TRAP_HANDLER: 0
; COMPUTE_PGM_RSRC2:TGID_X_EN: 1
; COMPUTE_PGM_RSRC2:TGID_Y_EN: 0
; COMPUTE_PGM_RSRC2:TGID_Z_EN: 0
; COMPUTE_PGM_RSRC2:TIDIG_COMP_CNT: 0
	.section	.text._Z13wvSplitKQ_hf_I14__hip_bfloat16N3c1015Float8_e4m3fnuzELi64ELi7ELi16ELi16ELi1ELi4EEviiiPKT0_S5_PT_PKfS9_ii,"axG",@progbits,_Z13wvSplitKQ_hf_I14__hip_bfloat16N3c1015Float8_e4m3fnuzELi64ELi7ELi16ELi16ELi1ELi4EEviiiPKT0_S5_PT_PKfS9_ii,comdat
	.protected	_Z13wvSplitKQ_hf_I14__hip_bfloat16N3c1015Float8_e4m3fnuzELi64ELi7ELi16ELi16ELi1ELi4EEviiiPKT0_S5_PT_PKfS9_ii ; -- Begin function _Z13wvSplitKQ_hf_I14__hip_bfloat16N3c1015Float8_e4m3fnuzELi64ELi7ELi16ELi16ELi1ELi4EEviiiPKT0_S5_PT_PKfS9_ii
	.globl	_Z13wvSplitKQ_hf_I14__hip_bfloat16N3c1015Float8_e4m3fnuzELi64ELi7ELi16ELi16ELi1ELi4EEviiiPKT0_S5_PT_PKfS9_ii
	.p2align	8
	.type	_Z13wvSplitKQ_hf_I14__hip_bfloat16N3c1015Float8_e4m3fnuzELi64ELi7ELi16ELi16ELi1ELi4EEviiiPKT0_S5_PT_PKfS9_ii,@function
_Z13wvSplitKQ_hf_I14__hip_bfloat16N3c1015Float8_e4m3fnuzELi64ELi7ELi16ELi16ELi1ELi4EEviiiPKT0_S5_PT_PKfS9_ii: ; @_Z13wvSplitKQ_hf_I14__hip_bfloat16N3c1015Float8_e4m3fnuzELi64ELi7ELi16ELi16ELi1ELi4EEviiiPKT0_S5_PT_PKfS9_ii
; %bb.0:
	s_add_u32 s8, s0, 64
	s_addc_u32 s9, s1, 0
	s_getpc_b64 s[0:1]
	s_add_u32 s0, s0, __PRETTY_FUNCTION__._Z13wvSplitKQ_hf_I14__hip_bfloat16N3c1015Float8_e4m3fnuzELi64ELi7ELi16ELi16ELi1ELi4EEviiiPKT0_S5_PT_PKfS9_ii@rel32@lo+4
	s_addc_u32 s1, s1, __PRETTY_FUNCTION__._Z13wvSplitKQ_hf_I14__hip_bfloat16N3c1015Float8_e4m3fnuzELi64ELi7ELi16ELi16ELi1ELi4EEviiiPKT0_S5_PT_PKfS9_ii@rel32@hi+12
	v_dual_mov_b32 v0, 0x66e :: v_dual_mov_b32 v1, s0
	v_mov_b32_e32 v2, s1
	s_mov_b32 s32, 0
	s_getpc_b64 s[2:3]
	s_add_u32 s2, s2, __assert_fail@rel32@lo+4
	s_addc_u32 s3, s3, __assert_fail@rel32@hi+12
	s_delay_alu instid0(SALU_CYCLE_1)
	s_swappc_b64 s[30:31], s[2:3]
	.section	.rodata,"a",@progbits
	.p2align	6, 0x0
	.amdhsa_kernel _Z13wvSplitKQ_hf_I14__hip_bfloat16N3c1015Float8_e4m3fnuzELi64ELi7ELi16ELi16ELi1ELi4EEviiiPKT0_S5_PT_PKfS9_ii
		.amdhsa_group_segment_fixed_size 0
		.amdhsa_private_segment_fixed_size 64
		.amdhsa_kernarg_size 320
		.amdhsa_user_sgpr_count 15
		.amdhsa_user_sgpr_dispatch_ptr 0
		.amdhsa_user_sgpr_queue_ptr 0
		.amdhsa_user_sgpr_kernarg_segment_ptr 1
		.amdhsa_user_sgpr_dispatch_id 0
		.amdhsa_user_sgpr_private_segment_size 0
		.amdhsa_wavefront_size32 1
		.amdhsa_uses_dynamic_stack 0
		.amdhsa_enable_private_segment 1
		.amdhsa_system_sgpr_workgroup_id_x 1
		.amdhsa_system_sgpr_workgroup_id_y 0
		.amdhsa_system_sgpr_workgroup_id_z 0
		.amdhsa_system_sgpr_workgroup_info 0
		.amdhsa_system_vgpr_workitem_id 0
		.amdhsa_next_free_vgpr 50
		.amdhsa_next_free_sgpr 34
		.amdhsa_reserve_vcc 1
		.amdhsa_float_round_mode_32 0
		.amdhsa_float_round_mode_16_64 0
		.amdhsa_float_denorm_mode_32 3
		.amdhsa_float_denorm_mode_16_64 3
		.amdhsa_dx10_clamp 1
		.amdhsa_ieee_mode 1
		.amdhsa_fp16_overflow 0
		.amdhsa_workgroup_processor_mode 1
		.amdhsa_memory_ordered 1
		.amdhsa_forward_progress 0
		.amdhsa_shared_vgpr_count 0
		.amdhsa_exception_fp_ieee_invalid_op 0
		.amdhsa_exception_fp_denorm_src 0
		.amdhsa_exception_fp_ieee_div_zero 0
		.amdhsa_exception_fp_ieee_overflow 0
		.amdhsa_exception_fp_ieee_underflow 0
		.amdhsa_exception_fp_ieee_inexact 0
		.amdhsa_exception_int_div_zero 0
	.end_amdhsa_kernel
	.section	.text._Z13wvSplitKQ_hf_I14__hip_bfloat16N3c1015Float8_e4m3fnuzELi64ELi7ELi16ELi16ELi1ELi4EEviiiPKT0_S5_PT_PKfS9_ii,"axG",@progbits,_Z13wvSplitKQ_hf_I14__hip_bfloat16N3c1015Float8_e4m3fnuzELi64ELi7ELi16ELi16ELi1ELi4EEviiiPKT0_S5_PT_PKfS9_ii,comdat
.Lfunc_end65:
	.size	_Z13wvSplitKQ_hf_I14__hip_bfloat16N3c1015Float8_e4m3fnuzELi64ELi7ELi16ELi16ELi1ELi4EEviiiPKT0_S5_PT_PKfS9_ii, .Lfunc_end65-_Z13wvSplitKQ_hf_I14__hip_bfloat16N3c1015Float8_e4m3fnuzELi64ELi7ELi16ELi16ELi1ELi4EEviiiPKT0_S5_PT_PKfS9_ii
                                        ; -- End function
	.section	.AMDGPU.csdata,"",@progbits
; Kernel info:
; codeLenInByte = 76
; NumSgprs: 36
; NumVgprs: 50
; ScratchSize: 64
; MemoryBound: 0
; FloatMode: 240
; IeeeMode: 1
; LDSByteSize: 0 bytes/workgroup (compile time only)
; SGPRBlocks: 4
; VGPRBlocks: 6
; NumSGPRsForWavesPerEU: 36
; NumVGPRsForWavesPerEU: 50
; Occupancy: 16
; WaveLimiterHint : 1
; COMPUTE_PGM_RSRC2:SCRATCH_EN: 1
; COMPUTE_PGM_RSRC2:USER_SGPR: 15
; COMPUTE_PGM_RSRC2:TRAP_HANDLER: 0
; COMPUTE_PGM_RSRC2:TGID_X_EN: 1
; COMPUTE_PGM_RSRC2:TGID_Y_EN: 0
; COMPUTE_PGM_RSRC2:TGID_Z_EN: 0
; COMPUTE_PGM_RSRC2:TIDIG_COMP_CNT: 0
	.text
	.p2alignl 7, 3214868480
	.fill 96, 4, 3214868480
	.type	__const.__assert_fail.fmt,@object ; @__const.__assert_fail.fmt
	.section	.rodata.str1.16,"aMS",@progbits,1
	.p2align	4, 0x0
__const.__assert_fail.fmt:
	.asciz	"%s:%u: %s: Device-side assertion `%s' failed.\n"
	.size	__const.__assert_fail.fmt, 47

	.type	.str.1,@object                  ; @.str.1
	.section	.rodata.str1.1,"aMS",@progbits,1
.str.1:
	.asciz	"false"
	.size	.str.1, 6

	.type	.str.2,@object                  ; @.str.2
.str.2:
	.asciz	"/root/src/amdgpu-assembly/repos/ROCm__vllm/csrc/rocm/skinny_gemms.hip"
	.size	.str.2, 70

	.type	__PRETTY_FUNCTION__._Z16wvSplitK_hf_sml_I6__halfLi64ELi2ELi16ELi8ELi2ELi1EEviiPKT_S3_PS1_ii,@object ; @__PRETTY_FUNCTION__._Z16wvSplitK_hf_sml_I6__halfLi64ELi2ELi16ELi8ELi2ELi1EEviiPKT_S3_PS1_ii
__PRETTY_FUNCTION__._Z16wvSplitK_hf_sml_I6__halfLi64ELi2ELi16ELi8ELi2ELi1EEviiPKT_S3_PS1_ii:
	.asciz	"void wvSplitK_hf_sml_(const int, const int, const scalar_t *, const scalar_t *__restrict, scalar_t *, const int, const int) [scalar_t = __half, THRDS = 64, YTILE = 2, WvPrGrp = 16, A_CHUNK = 8, UNRL = 2, N = 1]"
	.size	__PRETTY_FUNCTION__._Z16wvSplitK_hf_sml_I6__halfLi64ELi2ELi16ELi8ELi2ELi1EEviiPKT_S3_PS1_ii, 211

	.type	__PRETTY_FUNCTION__._Z12wvSplitK_hf_I6__halfLi64ELi2ELi16ELi8ELi2ELi1EEviiPKT_S3_PS1_ii,@object ; @__PRETTY_FUNCTION__._Z12wvSplitK_hf_I6__halfLi64ELi2ELi16ELi8ELi2ELi1EEviiPKT_S3_PS1_ii
__PRETTY_FUNCTION__._Z12wvSplitK_hf_I6__halfLi64ELi2ELi16ELi8ELi2ELi1EEviiPKT_S3_PS1_ii:
	.asciz	"void wvSplitK_hf_(const int, const int, const scalar_t *, const scalar_t *__restrict, scalar_t *, const int, const int) [scalar_t = __half, THRDS = 64, YTILE = 2, WvPrGrp = 16, A_CHUNK = 8, UNRL = 2, N = 1]"
	.size	__PRETTY_FUNCTION__._Z12wvSplitK_hf_I6__halfLi64ELi2ELi16ELi8ELi2ELi1EEviiPKT_S3_PS1_ii, 207

	.type	__PRETTY_FUNCTION__._Z16wvSplitK_hf_big_I6__halfLi64ELi2ELi16ELi8ELi2ELi1EEviiPKT_S3_PS1_ii,@object ; @__PRETTY_FUNCTION__._Z16wvSplitK_hf_big_I6__halfLi64ELi2ELi16ELi8ELi2ELi1EEviiPKT_S3_PS1_ii
__PRETTY_FUNCTION__._Z16wvSplitK_hf_big_I6__halfLi64ELi2ELi16ELi8ELi2ELi1EEviiPKT_S3_PS1_ii:
	.asciz	"void wvSplitK_hf_big_(const int, const int, const scalar_t *, const scalar_t *__restrict, scalar_t *, const int, const int) [scalar_t = __half, THRDS = 64, YTILE = 2, WvPrGrp = 16, A_CHUNK = 8, UNRL = 2, N = 1]"
	.size	__PRETTY_FUNCTION__._Z16wvSplitK_hf_big_I6__halfLi64ELi2ELi16ELi8ELi2ELi1EEviiPKT_S3_PS1_ii, 211

	.type	__PRETTY_FUNCTION__._Z16wvSplitK_hf_sml_I6__halfLi64ELi2ELi16ELi8ELi2ELi2EEviiPKT_S3_PS1_ii,@object ; @__PRETTY_FUNCTION__._Z16wvSplitK_hf_sml_I6__halfLi64ELi2ELi16ELi8ELi2ELi2EEviiPKT_S3_PS1_ii
__PRETTY_FUNCTION__._Z16wvSplitK_hf_sml_I6__halfLi64ELi2ELi16ELi8ELi2ELi2EEviiPKT_S3_PS1_ii:
	.asciz	"void wvSplitK_hf_sml_(const int, const int, const scalar_t *, const scalar_t *__restrict, scalar_t *, const int, const int) [scalar_t = __half, THRDS = 64, YTILE = 2, WvPrGrp = 16, A_CHUNK = 8, UNRL = 2, N = 2]"
	.size	__PRETTY_FUNCTION__._Z16wvSplitK_hf_sml_I6__halfLi64ELi2ELi16ELi8ELi2ELi2EEviiPKT_S3_PS1_ii, 211

	.type	__PRETTY_FUNCTION__._Z12wvSplitK_hf_I6__halfLi64ELi2ELi16ELi8ELi2ELi2EEviiPKT_S3_PS1_ii,@object ; @__PRETTY_FUNCTION__._Z12wvSplitK_hf_I6__halfLi64ELi2ELi16ELi8ELi2ELi2EEviiPKT_S3_PS1_ii
__PRETTY_FUNCTION__._Z12wvSplitK_hf_I6__halfLi64ELi2ELi16ELi8ELi2ELi2EEviiPKT_S3_PS1_ii:
	.asciz	"void wvSplitK_hf_(const int, const int, const scalar_t *, const scalar_t *__restrict, scalar_t *, const int, const int) [scalar_t = __half, THRDS = 64, YTILE = 2, WvPrGrp = 16, A_CHUNK = 8, UNRL = 2, N = 2]"
	.size	__PRETTY_FUNCTION__._Z12wvSplitK_hf_I6__halfLi64ELi2ELi16ELi8ELi2ELi2EEviiPKT_S3_PS1_ii, 207

	.type	__PRETTY_FUNCTION__._Z16wvSplitK_hf_big_I6__halfLi64ELi2ELi16ELi8ELi2ELi2EEviiPKT_S3_PS1_ii,@object ; @__PRETTY_FUNCTION__._Z16wvSplitK_hf_big_I6__halfLi64ELi2ELi16ELi8ELi2ELi2EEviiPKT_S3_PS1_ii
__PRETTY_FUNCTION__._Z16wvSplitK_hf_big_I6__halfLi64ELi2ELi16ELi8ELi2ELi2EEviiPKT_S3_PS1_ii:
	.asciz	"void wvSplitK_hf_big_(const int, const int, const scalar_t *, const scalar_t *__restrict, scalar_t *, const int, const int) [scalar_t = __half, THRDS = 64, YTILE = 2, WvPrGrp = 16, A_CHUNK = 8, UNRL = 2, N = 2]"
	.size	__PRETTY_FUNCTION__._Z16wvSplitK_hf_big_I6__halfLi64ELi2ELi16ELi8ELi2ELi2EEviiPKT_S3_PS1_ii, 211

	.type	__PRETTY_FUNCTION__._Z16wvSplitK_hf_sml_I6__halfLi64ELi4ELi16ELi8ELi1ELi3EEviiPKT_S3_PS1_ii,@object ; @__PRETTY_FUNCTION__._Z16wvSplitK_hf_sml_I6__halfLi64ELi4ELi16ELi8ELi1ELi3EEviiPKT_S3_PS1_ii
__PRETTY_FUNCTION__._Z16wvSplitK_hf_sml_I6__halfLi64ELi4ELi16ELi8ELi1ELi3EEviiPKT_S3_PS1_ii:
	.asciz	"void wvSplitK_hf_sml_(const int, const int, const scalar_t *, const scalar_t *__restrict, scalar_t *, const int, const int) [scalar_t = __half, THRDS = 64, YTILE = 4, WvPrGrp = 16, A_CHUNK = 8, UNRL = 1, N = 3]"
	.size	__PRETTY_FUNCTION__._Z16wvSplitK_hf_sml_I6__halfLi64ELi4ELi16ELi8ELi1ELi3EEviiPKT_S3_PS1_ii, 211

	.type	__PRETTY_FUNCTION__._Z12wvSplitK_hf_I6__halfLi64ELi7ELi16ELi8ELi1ELi3EEviiPKT_S3_PS1_ii,@object ; @__PRETTY_FUNCTION__._Z12wvSplitK_hf_I6__halfLi64ELi7ELi16ELi8ELi1ELi3EEviiPKT_S3_PS1_ii
__PRETTY_FUNCTION__._Z12wvSplitK_hf_I6__halfLi64ELi7ELi16ELi8ELi1ELi3EEviiPKT_S3_PS1_ii:
	.asciz	"void wvSplitK_hf_(const int, const int, const scalar_t *, const scalar_t *__restrict, scalar_t *, const int, const int) [scalar_t = __half, THRDS = 64, YTILE = 7, WvPrGrp = 16, A_CHUNK = 8, UNRL = 1, N = 3]"
	.size	__PRETTY_FUNCTION__._Z12wvSplitK_hf_I6__halfLi64ELi7ELi16ELi8ELi1ELi3EEviiPKT_S3_PS1_ii, 207

	.type	__PRETTY_FUNCTION__._Z16wvSplitK_hf_big_I6__halfLi64ELi7ELi16ELi8ELi1ELi3EEviiPKT_S3_PS1_ii,@object ; @__PRETTY_FUNCTION__._Z16wvSplitK_hf_big_I6__halfLi64ELi7ELi16ELi8ELi1ELi3EEviiPKT_S3_PS1_ii
__PRETTY_FUNCTION__._Z16wvSplitK_hf_big_I6__halfLi64ELi7ELi16ELi8ELi1ELi3EEviiPKT_S3_PS1_ii:
	.asciz	"void wvSplitK_hf_big_(const int, const int, const scalar_t *, const scalar_t *__restrict, scalar_t *, const int, const int) [scalar_t = __half, THRDS = 64, YTILE = 7, WvPrGrp = 16, A_CHUNK = 8, UNRL = 1, N = 3]"
	.size	__PRETTY_FUNCTION__._Z16wvSplitK_hf_big_I6__halfLi64ELi7ELi16ELi8ELi1ELi3EEviiPKT_S3_PS1_ii, 211

	.type	__PRETTY_FUNCTION__._Z16wvSplitK_hf_sml_I6__halfLi64ELi4ELi16ELi8ELi1ELi4EEviiPKT_S3_PS1_ii,@object ; @__PRETTY_FUNCTION__._Z16wvSplitK_hf_sml_I6__halfLi64ELi4ELi16ELi8ELi1ELi4EEviiPKT_S3_PS1_ii
__PRETTY_FUNCTION__._Z16wvSplitK_hf_sml_I6__halfLi64ELi4ELi16ELi8ELi1ELi4EEviiPKT_S3_PS1_ii:
	.asciz	"void wvSplitK_hf_sml_(const int, const int, const scalar_t *, const scalar_t *__restrict, scalar_t *, const int, const int) [scalar_t = __half, THRDS = 64, YTILE = 4, WvPrGrp = 16, A_CHUNK = 8, UNRL = 1, N = 4]"
	.size	__PRETTY_FUNCTION__._Z16wvSplitK_hf_sml_I6__halfLi64ELi4ELi16ELi8ELi1ELi4EEviiPKT_S3_PS1_ii, 211

	.type	__PRETTY_FUNCTION__._Z12wvSplitK_hf_I6__halfLi64ELi7ELi16ELi8ELi1ELi4EEviiPKT_S3_PS1_ii,@object ; @__PRETTY_FUNCTION__._Z12wvSplitK_hf_I6__halfLi64ELi7ELi16ELi8ELi1ELi4EEviiPKT_S3_PS1_ii
__PRETTY_FUNCTION__._Z12wvSplitK_hf_I6__halfLi64ELi7ELi16ELi8ELi1ELi4EEviiPKT_S3_PS1_ii:
	.asciz	"void wvSplitK_hf_(const int, const int, const scalar_t *, const scalar_t *__restrict, scalar_t *, const int, const int) [scalar_t = __half, THRDS = 64, YTILE = 7, WvPrGrp = 16, A_CHUNK = 8, UNRL = 1, N = 4]"
	.size	__PRETTY_FUNCTION__._Z12wvSplitK_hf_I6__halfLi64ELi7ELi16ELi8ELi1ELi4EEviiPKT_S3_PS1_ii, 207

	.type	__PRETTY_FUNCTION__._Z16wvSplitK_hf_big_I6__halfLi64ELi7ELi16ELi8ELi1ELi4EEviiPKT_S3_PS1_ii,@object ; @__PRETTY_FUNCTION__._Z16wvSplitK_hf_big_I6__halfLi64ELi7ELi16ELi8ELi1ELi4EEviiPKT_S3_PS1_ii
__PRETTY_FUNCTION__._Z16wvSplitK_hf_big_I6__halfLi64ELi7ELi16ELi8ELi1ELi4EEviiPKT_S3_PS1_ii:
	.asciz	"void wvSplitK_hf_big_(const int, const int, const scalar_t *, const scalar_t *__restrict, scalar_t *, const int, const int) [scalar_t = __half, THRDS = 64, YTILE = 7, WvPrGrp = 16, A_CHUNK = 8, UNRL = 1, N = 4]"
	.size	__PRETTY_FUNCTION__._Z16wvSplitK_hf_big_I6__halfLi64ELi7ELi16ELi8ELi1ELi4EEviiPKT_S3_PS1_ii, 211

	.type	__PRETTY_FUNCTION__._Z16wvSplitK_hf_sml_I14__hip_bfloat16Li64ELi2ELi16ELi8ELi2ELi1EEviiPKT_S3_PS1_ii,@object ; @__PRETTY_FUNCTION__._Z16wvSplitK_hf_sml_I14__hip_bfloat16Li64ELi2ELi16ELi8ELi2ELi1EEviiPKT_S3_PS1_ii
__PRETTY_FUNCTION__._Z16wvSplitK_hf_sml_I14__hip_bfloat16Li64ELi2ELi16ELi8ELi2ELi1EEviiPKT_S3_PS1_ii:
	.asciz	"void wvSplitK_hf_sml_(const int, const int, const scalar_t *, const scalar_t *__restrict, scalar_t *, const int, const int) [scalar_t = __hip_bfloat16, THRDS = 64, YTILE = 2, WvPrGrp = 16, A_CHUNK = 8, UNRL = 2, N = 1]"
	.size	__PRETTY_FUNCTION__._Z16wvSplitK_hf_sml_I14__hip_bfloat16Li64ELi2ELi16ELi8ELi2ELi1EEviiPKT_S3_PS1_ii, 219

	.type	__PRETTY_FUNCTION__._Z12wvSplitK_hf_I14__hip_bfloat16Li64ELi2ELi16ELi8ELi2ELi1EEviiPKT_S3_PS1_ii,@object ; @__PRETTY_FUNCTION__._Z12wvSplitK_hf_I14__hip_bfloat16Li64ELi2ELi16ELi8ELi2ELi1EEviiPKT_S3_PS1_ii
__PRETTY_FUNCTION__._Z12wvSplitK_hf_I14__hip_bfloat16Li64ELi2ELi16ELi8ELi2ELi1EEviiPKT_S3_PS1_ii:
	.asciz	"void wvSplitK_hf_(const int, const int, const scalar_t *, const scalar_t *__restrict, scalar_t *, const int, const int) [scalar_t = __hip_bfloat16, THRDS = 64, YTILE = 2, WvPrGrp = 16, A_CHUNK = 8, UNRL = 2, N = 1]"
	.size	__PRETTY_FUNCTION__._Z12wvSplitK_hf_I14__hip_bfloat16Li64ELi2ELi16ELi8ELi2ELi1EEviiPKT_S3_PS1_ii, 215

	.type	__PRETTY_FUNCTION__._Z16wvSplitK_hf_big_I14__hip_bfloat16Li64ELi2ELi16ELi8ELi2ELi1EEviiPKT_S3_PS1_ii,@object ; @__PRETTY_FUNCTION__._Z16wvSplitK_hf_big_I14__hip_bfloat16Li64ELi2ELi16ELi8ELi2ELi1EEviiPKT_S3_PS1_ii
__PRETTY_FUNCTION__._Z16wvSplitK_hf_big_I14__hip_bfloat16Li64ELi2ELi16ELi8ELi2ELi1EEviiPKT_S3_PS1_ii:
	.asciz	"void wvSplitK_hf_big_(const int, const int, const scalar_t *, const scalar_t *__restrict, scalar_t *, const int, const int) [scalar_t = __hip_bfloat16, THRDS = 64, YTILE = 2, WvPrGrp = 16, A_CHUNK = 8, UNRL = 2, N = 1]"
	.size	__PRETTY_FUNCTION__._Z16wvSplitK_hf_big_I14__hip_bfloat16Li64ELi2ELi16ELi8ELi2ELi1EEviiPKT_S3_PS1_ii, 219

	.type	__PRETTY_FUNCTION__._Z16wvSplitK_hf_sml_I14__hip_bfloat16Li64ELi2ELi16ELi8ELi2ELi2EEviiPKT_S3_PS1_ii,@object ; @__PRETTY_FUNCTION__._Z16wvSplitK_hf_sml_I14__hip_bfloat16Li64ELi2ELi16ELi8ELi2ELi2EEviiPKT_S3_PS1_ii
__PRETTY_FUNCTION__._Z16wvSplitK_hf_sml_I14__hip_bfloat16Li64ELi2ELi16ELi8ELi2ELi2EEviiPKT_S3_PS1_ii:
	.asciz	"void wvSplitK_hf_sml_(const int, const int, const scalar_t *, const scalar_t *__restrict, scalar_t *, const int, const int) [scalar_t = __hip_bfloat16, THRDS = 64, YTILE = 2, WvPrGrp = 16, A_CHUNK = 8, UNRL = 2, N = 2]"
	.size	__PRETTY_FUNCTION__._Z16wvSplitK_hf_sml_I14__hip_bfloat16Li64ELi2ELi16ELi8ELi2ELi2EEviiPKT_S3_PS1_ii, 219

	.type	__PRETTY_FUNCTION__._Z12wvSplitK_hf_I14__hip_bfloat16Li64ELi2ELi16ELi8ELi2ELi2EEviiPKT_S3_PS1_ii,@object ; @__PRETTY_FUNCTION__._Z12wvSplitK_hf_I14__hip_bfloat16Li64ELi2ELi16ELi8ELi2ELi2EEviiPKT_S3_PS1_ii
__PRETTY_FUNCTION__._Z12wvSplitK_hf_I14__hip_bfloat16Li64ELi2ELi16ELi8ELi2ELi2EEviiPKT_S3_PS1_ii:
	.asciz	"void wvSplitK_hf_(const int, const int, const scalar_t *, const scalar_t *__restrict, scalar_t *, const int, const int) [scalar_t = __hip_bfloat16, THRDS = 64, YTILE = 2, WvPrGrp = 16, A_CHUNK = 8, UNRL = 2, N = 2]"
	.size	__PRETTY_FUNCTION__._Z12wvSplitK_hf_I14__hip_bfloat16Li64ELi2ELi16ELi8ELi2ELi2EEviiPKT_S3_PS1_ii, 215

	.type	__PRETTY_FUNCTION__._Z16wvSplitK_hf_big_I14__hip_bfloat16Li64ELi2ELi16ELi8ELi2ELi2EEviiPKT_S3_PS1_ii,@object ; @__PRETTY_FUNCTION__._Z16wvSplitK_hf_big_I14__hip_bfloat16Li64ELi2ELi16ELi8ELi2ELi2EEviiPKT_S3_PS1_ii
__PRETTY_FUNCTION__._Z16wvSplitK_hf_big_I14__hip_bfloat16Li64ELi2ELi16ELi8ELi2ELi2EEviiPKT_S3_PS1_ii:
	.asciz	"void wvSplitK_hf_big_(const int, const int, const scalar_t *, const scalar_t *__restrict, scalar_t *, const int, const int) [scalar_t = __hip_bfloat16, THRDS = 64, YTILE = 2, WvPrGrp = 16, A_CHUNK = 8, UNRL = 2, N = 2]"
	.size	__PRETTY_FUNCTION__._Z16wvSplitK_hf_big_I14__hip_bfloat16Li64ELi2ELi16ELi8ELi2ELi2EEviiPKT_S3_PS1_ii, 219

	.type	__PRETTY_FUNCTION__._Z16wvSplitK_hf_sml_I14__hip_bfloat16Li64ELi4ELi16ELi8ELi1ELi3EEviiPKT_S3_PS1_ii,@object ; @__PRETTY_FUNCTION__._Z16wvSplitK_hf_sml_I14__hip_bfloat16Li64ELi4ELi16ELi8ELi1ELi3EEviiPKT_S3_PS1_ii
__PRETTY_FUNCTION__._Z16wvSplitK_hf_sml_I14__hip_bfloat16Li64ELi4ELi16ELi8ELi1ELi3EEviiPKT_S3_PS1_ii:
	.asciz	"void wvSplitK_hf_sml_(const int, const int, const scalar_t *, const scalar_t *__restrict, scalar_t *, const int, const int) [scalar_t = __hip_bfloat16, THRDS = 64, YTILE = 4, WvPrGrp = 16, A_CHUNK = 8, UNRL = 1, N = 3]"
	.size	__PRETTY_FUNCTION__._Z16wvSplitK_hf_sml_I14__hip_bfloat16Li64ELi4ELi16ELi8ELi1ELi3EEviiPKT_S3_PS1_ii, 219

	.type	__PRETTY_FUNCTION__._Z12wvSplitK_hf_I14__hip_bfloat16Li64ELi7ELi16ELi8ELi1ELi3EEviiPKT_S3_PS1_ii,@object ; @__PRETTY_FUNCTION__._Z12wvSplitK_hf_I14__hip_bfloat16Li64ELi7ELi16ELi8ELi1ELi3EEviiPKT_S3_PS1_ii
__PRETTY_FUNCTION__._Z12wvSplitK_hf_I14__hip_bfloat16Li64ELi7ELi16ELi8ELi1ELi3EEviiPKT_S3_PS1_ii:
	.asciz	"void wvSplitK_hf_(const int, const int, const scalar_t *, const scalar_t *__restrict, scalar_t *, const int, const int) [scalar_t = __hip_bfloat16, THRDS = 64, YTILE = 7, WvPrGrp = 16, A_CHUNK = 8, UNRL = 1, N = 3]"
	.size	__PRETTY_FUNCTION__._Z12wvSplitK_hf_I14__hip_bfloat16Li64ELi7ELi16ELi8ELi1ELi3EEviiPKT_S3_PS1_ii, 215

	.type	__PRETTY_FUNCTION__._Z16wvSplitK_hf_big_I14__hip_bfloat16Li64ELi7ELi16ELi8ELi1ELi3EEviiPKT_S3_PS1_ii,@object ; @__PRETTY_FUNCTION__._Z16wvSplitK_hf_big_I14__hip_bfloat16Li64ELi7ELi16ELi8ELi1ELi3EEviiPKT_S3_PS1_ii
__PRETTY_FUNCTION__._Z16wvSplitK_hf_big_I14__hip_bfloat16Li64ELi7ELi16ELi8ELi1ELi3EEviiPKT_S3_PS1_ii:
	.asciz	"void wvSplitK_hf_big_(const int, const int, const scalar_t *, const scalar_t *__restrict, scalar_t *, const int, const int) [scalar_t = __hip_bfloat16, THRDS = 64, YTILE = 7, WvPrGrp = 16, A_CHUNK = 8, UNRL = 1, N = 3]"
	.size	__PRETTY_FUNCTION__._Z16wvSplitK_hf_big_I14__hip_bfloat16Li64ELi7ELi16ELi8ELi1ELi3EEviiPKT_S3_PS1_ii, 219

	.type	__PRETTY_FUNCTION__._Z16wvSplitK_hf_sml_I14__hip_bfloat16Li64ELi4ELi16ELi8ELi1ELi4EEviiPKT_S3_PS1_ii,@object ; @__PRETTY_FUNCTION__._Z16wvSplitK_hf_sml_I14__hip_bfloat16Li64ELi4ELi16ELi8ELi1ELi4EEviiPKT_S3_PS1_ii
__PRETTY_FUNCTION__._Z16wvSplitK_hf_sml_I14__hip_bfloat16Li64ELi4ELi16ELi8ELi1ELi4EEviiPKT_S3_PS1_ii:
	.asciz	"void wvSplitK_hf_sml_(const int, const int, const scalar_t *, const scalar_t *__restrict, scalar_t *, const int, const int) [scalar_t = __hip_bfloat16, THRDS = 64, YTILE = 4, WvPrGrp = 16, A_CHUNK = 8, UNRL = 1, N = 4]"
	.size	__PRETTY_FUNCTION__._Z16wvSplitK_hf_sml_I14__hip_bfloat16Li64ELi4ELi16ELi8ELi1ELi4EEviiPKT_S3_PS1_ii, 219

	.type	__PRETTY_FUNCTION__._Z12wvSplitK_hf_I14__hip_bfloat16Li64ELi7ELi16ELi8ELi1ELi4EEviiPKT_S3_PS1_ii,@object ; @__PRETTY_FUNCTION__._Z12wvSplitK_hf_I14__hip_bfloat16Li64ELi7ELi16ELi8ELi1ELi4EEviiPKT_S3_PS1_ii
__PRETTY_FUNCTION__._Z12wvSplitK_hf_I14__hip_bfloat16Li64ELi7ELi16ELi8ELi1ELi4EEviiPKT_S3_PS1_ii:
	.asciz	"void wvSplitK_hf_(const int, const int, const scalar_t *, const scalar_t *__restrict, scalar_t *, const int, const int) [scalar_t = __hip_bfloat16, THRDS = 64, YTILE = 7, WvPrGrp = 16, A_CHUNK = 8, UNRL = 1, N = 4]"
	.size	__PRETTY_FUNCTION__._Z12wvSplitK_hf_I14__hip_bfloat16Li64ELi7ELi16ELi8ELi1ELi4EEviiPKT_S3_PS1_ii, 215

	.type	__PRETTY_FUNCTION__._Z16wvSplitK_hf_big_I14__hip_bfloat16Li64ELi7ELi16ELi8ELi1ELi4EEviiPKT_S3_PS1_ii,@object ; @__PRETTY_FUNCTION__._Z16wvSplitK_hf_big_I14__hip_bfloat16Li64ELi7ELi16ELi8ELi1ELi4EEviiPKT_S3_PS1_ii
__PRETTY_FUNCTION__._Z16wvSplitK_hf_big_I14__hip_bfloat16Li64ELi7ELi16ELi8ELi1ELi4EEviiPKT_S3_PS1_ii:
	.asciz	"void wvSplitK_hf_big_(const int, const int, const scalar_t *, const scalar_t *__restrict, scalar_t *, const int, const int) [scalar_t = __hip_bfloat16, THRDS = 64, YTILE = 7, WvPrGrp = 16, A_CHUNK = 8, UNRL = 1, N = 4]"
	.size	__PRETTY_FUNCTION__._Z16wvSplitK_hf_big_I14__hip_bfloat16Li64ELi7ELi16ELi8ELi1ELi4EEviiPKT_S3_PS1_ii, 219

	.type	__PRETTY_FUNCTION__._Z17wvSplitKQ_hf_sml_I6__halfN3c1013Float8_e4m3fnELi64ELi2ELi16ELi16ELi2ELi1EEviiiPKT0_S5_PT_PKfS9_ii,@object ; @__PRETTY_FUNCTION__._Z17wvSplitKQ_hf_sml_I6__halfN3c1013Float8_e4m3fnELi64ELi2ELi16ELi16ELi2ELi1EEviiiPKT0_S5_PT_PKfS9_ii
__PRETTY_FUNCTION__._Z17wvSplitKQ_hf_sml_I6__halfN3c1013Float8_e4m3fnELi64ELi2ELi16ELi16ELi2ELi1EEviiiPKT0_S5_PT_PKfS9_ii:
	.asciz	"void wvSplitKQ_hf_sml_(const int, const int, const int, const fp8_t *, const fp8_t *__restrict, scalar_t *, const float *__restrict, const float *__restrict, const int, const int) [scalar_t = __half, fp8_t = c10::Float8_e4m3fn, THRDS = 64, YTILE = 2, WvPrGrp = 16, A_CHUNK = 16, UNRL = 2, N = 1]"
	.size	__PRETTY_FUNCTION__._Z17wvSplitKQ_hf_sml_I6__halfN3c1013Float8_e4m3fnELi64ELi2ELi16ELi16ELi2ELi1EEviiiPKT0_S5_PT_PKfS9_ii, 296

	.type	__PRETTY_FUNCTION__._Z13wvSplitKQ_hf_I6__halfN3c1013Float8_e4m3fnELi64ELi2ELi16ELi16ELi2ELi1EEviiiPKT0_S5_PT_PKfS9_ii,@object ; @__PRETTY_FUNCTION__._Z13wvSplitKQ_hf_I6__halfN3c1013Float8_e4m3fnELi64ELi2ELi16ELi16ELi2ELi1EEviiiPKT0_S5_PT_PKfS9_ii
__PRETTY_FUNCTION__._Z13wvSplitKQ_hf_I6__halfN3c1013Float8_e4m3fnELi64ELi2ELi16ELi16ELi2ELi1EEviiiPKT0_S5_PT_PKfS9_ii:
	.asciz	"void wvSplitKQ_hf_(const int, const int, const int, const fp8_t *, const fp8_t *__restrict, scalar_t *, const float *__restrict, const float *__restrict, const int, const int) [scalar_t = __half, fp8_t = c10::Float8_e4m3fn, THRDS = 64, YTILE = 2, WvPrGrp = 16, A_CHUNK = 16, UNRL = 2, N = 1]"
	.size	__PRETTY_FUNCTION__._Z13wvSplitKQ_hf_I6__halfN3c1013Float8_e4m3fnELi64ELi2ELi16ELi16ELi2ELi1EEviiiPKT0_S5_PT_PKfS9_ii, 292

	.type	__PRETTY_FUNCTION__._Z17wvSplitKQ_hf_sml_I6__halfN3c1013Float8_e4m3fnELi64ELi2ELi16ELi16ELi2ELi2EEviiiPKT0_S5_PT_PKfS9_ii,@object ; @__PRETTY_FUNCTION__._Z17wvSplitKQ_hf_sml_I6__halfN3c1013Float8_e4m3fnELi64ELi2ELi16ELi16ELi2ELi2EEviiiPKT0_S5_PT_PKfS9_ii
__PRETTY_FUNCTION__._Z17wvSplitKQ_hf_sml_I6__halfN3c1013Float8_e4m3fnELi64ELi2ELi16ELi16ELi2ELi2EEviiiPKT0_S5_PT_PKfS9_ii:
	.asciz	"void wvSplitKQ_hf_sml_(const int, const int, const int, const fp8_t *, const fp8_t *__restrict, scalar_t *, const float *__restrict, const float *__restrict, const int, const int) [scalar_t = __half, fp8_t = c10::Float8_e4m3fn, THRDS = 64, YTILE = 2, WvPrGrp = 16, A_CHUNK = 16, UNRL = 2, N = 2]"
	.size	__PRETTY_FUNCTION__._Z17wvSplitKQ_hf_sml_I6__halfN3c1013Float8_e4m3fnELi64ELi2ELi16ELi16ELi2ELi2EEviiiPKT0_S5_PT_PKfS9_ii, 296

	.type	__PRETTY_FUNCTION__._Z13wvSplitKQ_hf_I6__halfN3c1013Float8_e4m3fnELi64ELi2ELi16ELi16ELi2ELi2EEviiiPKT0_S5_PT_PKfS9_ii,@object ; @__PRETTY_FUNCTION__._Z13wvSplitKQ_hf_I6__halfN3c1013Float8_e4m3fnELi64ELi2ELi16ELi16ELi2ELi2EEviiiPKT0_S5_PT_PKfS9_ii
__PRETTY_FUNCTION__._Z13wvSplitKQ_hf_I6__halfN3c1013Float8_e4m3fnELi64ELi2ELi16ELi16ELi2ELi2EEviiiPKT0_S5_PT_PKfS9_ii:
	.asciz	"void wvSplitKQ_hf_(const int, const int, const int, const fp8_t *, const fp8_t *__restrict, scalar_t *, const float *__restrict, const float *__restrict, const int, const int) [scalar_t = __half, fp8_t = c10::Float8_e4m3fn, THRDS = 64, YTILE = 2, WvPrGrp = 16, A_CHUNK = 16, UNRL = 2, N = 2]"
	.size	__PRETTY_FUNCTION__._Z13wvSplitKQ_hf_I6__halfN3c1013Float8_e4m3fnELi64ELi2ELi16ELi16ELi2ELi2EEviiiPKT0_S5_PT_PKfS9_ii, 292

	.type	__PRETTY_FUNCTION__._Z17wvSplitKQ_hf_sml_I6__halfN3c1013Float8_e4m3fnELi64ELi4ELi16ELi16ELi1ELi3EEviiiPKT0_S5_PT_PKfS9_ii,@object ; @__PRETTY_FUNCTION__._Z17wvSplitKQ_hf_sml_I6__halfN3c1013Float8_e4m3fnELi64ELi4ELi16ELi16ELi1ELi3EEviiiPKT0_S5_PT_PKfS9_ii
__PRETTY_FUNCTION__._Z17wvSplitKQ_hf_sml_I6__halfN3c1013Float8_e4m3fnELi64ELi4ELi16ELi16ELi1ELi3EEviiiPKT0_S5_PT_PKfS9_ii:
	.asciz	"void wvSplitKQ_hf_sml_(const int, const int, const int, const fp8_t *, const fp8_t *__restrict, scalar_t *, const float *__restrict, const float *__restrict, const int, const int) [scalar_t = __half, fp8_t = c10::Float8_e4m3fn, THRDS = 64, YTILE = 4, WvPrGrp = 16, A_CHUNK = 16, UNRL = 1, N = 3]"
	.size	__PRETTY_FUNCTION__._Z17wvSplitKQ_hf_sml_I6__halfN3c1013Float8_e4m3fnELi64ELi4ELi16ELi16ELi1ELi3EEviiiPKT0_S5_PT_PKfS9_ii, 296

	.type	__PRETTY_FUNCTION__._Z13wvSplitKQ_hf_I6__halfN3c1013Float8_e4m3fnELi64ELi7ELi16ELi16ELi1ELi3EEviiiPKT0_S5_PT_PKfS9_ii,@object ; @__PRETTY_FUNCTION__._Z13wvSplitKQ_hf_I6__halfN3c1013Float8_e4m3fnELi64ELi7ELi16ELi16ELi1ELi3EEviiiPKT0_S5_PT_PKfS9_ii
__PRETTY_FUNCTION__._Z13wvSplitKQ_hf_I6__halfN3c1013Float8_e4m3fnELi64ELi7ELi16ELi16ELi1ELi3EEviiiPKT0_S5_PT_PKfS9_ii:
	.asciz	"void wvSplitKQ_hf_(const int, const int, const int, const fp8_t *, const fp8_t *__restrict, scalar_t *, const float *__restrict, const float *__restrict, const int, const int) [scalar_t = __half, fp8_t = c10::Float8_e4m3fn, THRDS = 64, YTILE = 7, WvPrGrp = 16, A_CHUNK = 16, UNRL = 1, N = 3]"
	.size	__PRETTY_FUNCTION__._Z13wvSplitKQ_hf_I6__halfN3c1013Float8_e4m3fnELi64ELi7ELi16ELi16ELi1ELi3EEviiiPKT0_S5_PT_PKfS9_ii, 292

	.type	__PRETTY_FUNCTION__._Z17wvSplitKQ_hf_sml_I6__halfN3c1013Float8_e4m3fnELi64ELi4ELi16ELi16ELi1ELi4EEviiiPKT0_S5_PT_PKfS9_ii,@object ; @__PRETTY_FUNCTION__._Z17wvSplitKQ_hf_sml_I6__halfN3c1013Float8_e4m3fnELi64ELi4ELi16ELi16ELi1ELi4EEviiiPKT0_S5_PT_PKfS9_ii
__PRETTY_FUNCTION__._Z17wvSplitKQ_hf_sml_I6__halfN3c1013Float8_e4m3fnELi64ELi4ELi16ELi16ELi1ELi4EEviiiPKT0_S5_PT_PKfS9_ii:
	.asciz	"void wvSplitKQ_hf_sml_(const int, const int, const int, const fp8_t *, const fp8_t *__restrict, scalar_t *, const float *__restrict, const float *__restrict, const int, const int) [scalar_t = __half, fp8_t = c10::Float8_e4m3fn, THRDS = 64, YTILE = 4, WvPrGrp = 16, A_CHUNK = 16, UNRL = 1, N = 4]"
	.size	__PRETTY_FUNCTION__._Z17wvSplitKQ_hf_sml_I6__halfN3c1013Float8_e4m3fnELi64ELi4ELi16ELi16ELi1ELi4EEviiiPKT0_S5_PT_PKfS9_ii, 296

	.type	__PRETTY_FUNCTION__._Z13wvSplitKQ_hf_I6__halfN3c1013Float8_e4m3fnELi64ELi7ELi16ELi16ELi1ELi4EEviiiPKT0_S5_PT_PKfS9_ii,@object ; @__PRETTY_FUNCTION__._Z13wvSplitKQ_hf_I6__halfN3c1013Float8_e4m3fnELi64ELi7ELi16ELi16ELi1ELi4EEviiiPKT0_S5_PT_PKfS9_ii
__PRETTY_FUNCTION__._Z13wvSplitKQ_hf_I6__halfN3c1013Float8_e4m3fnELi64ELi7ELi16ELi16ELi1ELi4EEviiiPKT0_S5_PT_PKfS9_ii:
	.asciz	"void wvSplitKQ_hf_(const int, const int, const int, const fp8_t *, const fp8_t *__restrict, scalar_t *, const float *__restrict, const float *__restrict, const int, const int) [scalar_t = __half, fp8_t = c10::Float8_e4m3fn, THRDS = 64, YTILE = 7, WvPrGrp = 16, A_CHUNK = 16, UNRL = 1, N = 4]"
	.size	__PRETTY_FUNCTION__._Z13wvSplitKQ_hf_I6__halfN3c1013Float8_e4m3fnELi64ELi7ELi16ELi16ELi1ELi4EEviiiPKT0_S5_PT_PKfS9_ii, 292

	.type	__PRETTY_FUNCTION__._Z17wvSplitKQ_hf_sml_I6__halfN3c1015Float8_e4m3fnuzELi64ELi2ELi16ELi16ELi2ELi1EEviiiPKT0_S5_PT_PKfS9_ii,@object ; @__PRETTY_FUNCTION__._Z17wvSplitKQ_hf_sml_I6__halfN3c1015Float8_e4m3fnuzELi64ELi2ELi16ELi16ELi2ELi1EEviiiPKT0_S5_PT_PKfS9_ii
__PRETTY_FUNCTION__._Z17wvSplitKQ_hf_sml_I6__halfN3c1015Float8_e4m3fnuzELi64ELi2ELi16ELi16ELi2ELi1EEviiiPKT0_S5_PT_PKfS9_ii:
	.asciz	"void wvSplitKQ_hf_sml_(const int, const int, const int, const fp8_t *, const fp8_t *__restrict, scalar_t *, const float *__restrict, const float *__restrict, const int, const int) [scalar_t = __half, fp8_t = c10::Float8_e4m3fnuz, THRDS = 64, YTILE = 2, WvPrGrp = 16, A_CHUNK = 16, UNRL = 2, N = 1]"
	.size	__PRETTY_FUNCTION__._Z17wvSplitKQ_hf_sml_I6__halfN3c1015Float8_e4m3fnuzELi64ELi2ELi16ELi16ELi2ELi1EEviiiPKT0_S5_PT_PKfS9_ii, 298

	.type	__PRETTY_FUNCTION__._Z13wvSplitKQ_hf_I6__halfN3c1015Float8_e4m3fnuzELi64ELi2ELi16ELi16ELi2ELi1EEviiiPKT0_S5_PT_PKfS9_ii,@object ; @__PRETTY_FUNCTION__._Z13wvSplitKQ_hf_I6__halfN3c1015Float8_e4m3fnuzELi64ELi2ELi16ELi16ELi2ELi1EEviiiPKT0_S5_PT_PKfS9_ii
__PRETTY_FUNCTION__._Z13wvSplitKQ_hf_I6__halfN3c1015Float8_e4m3fnuzELi64ELi2ELi16ELi16ELi2ELi1EEviiiPKT0_S5_PT_PKfS9_ii:
	.asciz	"void wvSplitKQ_hf_(const int, const int, const int, const fp8_t *, const fp8_t *__restrict, scalar_t *, const float *__restrict, const float *__restrict, const int, const int) [scalar_t = __half, fp8_t = c10::Float8_e4m3fnuz, THRDS = 64, YTILE = 2, WvPrGrp = 16, A_CHUNK = 16, UNRL = 2, N = 1]"
	.size	__PRETTY_FUNCTION__._Z13wvSplitKQ_hf_I6__halfN3c1015Float8_e4m3fnuzELi64ELi2ELi16ELi16ELi2ELi1EEviiiPKT0_S5_PT_PKfS9_ii, 294

	.type	__PRETTY_FUNCTION__._Z17wvSplitKQ_hf_sml_I6__halfN3c1015Float8_e4m3fnuzELi64ELi2ELi16ELi16ELi2ELi2EEviiiPKT0_S5_PT_PKfS9_ii,@object ; @__PRETTY_FUNCTION__._Z17wvSplitKQ_hf_sml_I6__halfN3c1015Float8_e4m3fnuzELi64ELi2ELi16ELi16ELi2ELi2EEviiiPKT0_S5_PT_PKfS9_ii
__PRETTY_FUNCTION__._Z17wvSplitKQ_hf_sml_I6__halfN3c1015Float8_e4m3fnuzELi64ELi2ELi16ELi16ELi2ELi2EEviiiPKT0_S5_PT_PKfS9_ii:
	.asciz	"void wvSplitKQ_hf_sml_(const int, const int, const int, const fp8_t *, const fp8_t *__restrict, scalar_t *, const float *__restrict, const float *__restrict, const int, const int) [scalar_t = __half, fp8_t = c10::Float8_e4m3fnuz, THRDS = 64, YTILE = 2, WvPrGrp = 16, A_CHUNK = 16, UNRL = 2, N = 2]"
	.size	__PRETTY_FUNCTION__._Z17wvSplitKQ_hf_sml_I6__halfN3c1015Float8_e4m3fnuzELi64ELi2ELi16ELi16ELi2ELi2EEviiiPKT0_S5_PT_PKfS9_ii, 298

	.type	__PRETTY_FUNCTION__._Z13wvSplitKQ_hf_I6__halfN3c1015Float8_e4m3fnuzELi64ELi2ELi16ELi16ELi2ELi2EEviiiPKT0_S5_PT_PKfS9_ii,@object ; @__PRETTY_FUNCTION__._Z13wvSplitKQ_hf_I6__halfN3c1015Float8_e4m3fnuzELi64ELi2ELi16ELi16ELi2ELi2EEviiiPKT0_S5_PT_PKfS9_ii
__PRETTY_FUNCTION__._Z13wvSplitKQ_hf_I6__halfN3c1015Float8_e4m3fnuzELi64ELi2ELi16ELi16ELi2ELi2EEviiiPKT0_S5_PT_PKfS9_ii:
	.asciz	"void wvSplitKQ_hf_(const int, const int, const int, const fp8_t *, const fp8_t *__restrict, scalar_t *, const float *__restrict, const float *__restrict, const int, const int) [scalar_t = __half, fp8_t = c10::Float8_e4m3fnuz, THRDS = 64, YTILE = 2, WvPrGrp = 16, A_CHUNK = 16, UNRL = 2, N = 2]"
	.size	__PRETTY_FUNCTION__._Z13wvSplitKQ_hf_I6__halfN3c1015Float8_e4m3fnuzELi64ELi2ELi16ELi16ELi2ELi2EEviiiPKT0_S5_PT_PKfS9_ii, 294

	.type	__PRETTY_FUNCTION__._Z17wvSplitKQ_hf_sml_I6__halfN3c1015Float8_e4m3fnuzELi64ELi4ELi16ELi16ELi1ELi3EEviiiPKT0_S5_PT_PKfS9_ii,@object ; @__PRETTY_FUNCTION__._Z17wvSplitKQ_hf_sml_I6__halfN3c1015Float8_e4m3fnuzELi64ELi4ELi16ELi16ELi1ELi3EEviiiPKT0_S5_PT_PKfS9_ii
__PRETTY_FUNCTION__._Z17wvSplitKQ_hf_sml_I6__halfN3c1015Float8_e4m3fnuzELi64ELi4ELi16ELi16ELi1ELi3EEviiiPKT0_S5_PT_PKfS9_ii:
	.asciz	"void wvSplitKQ_hf_sml_(const int, const int, const int, const fp8_t *, const fp8_t *__restrict, scalar_t *, const float *__restrict, const float *__restrict, const int, const int) [scalar_t = __half, fp8_t = c10::Float8_e4m3fnuz, THRDS = 64, YTILE = 4, WvPrGrp = 16, A_CHUNK = 16, UNRL = 1, N = 3]"
	.size	__PRETTY_FUNCTION__._Z17wvSplitKQ_hf_sml_I6__halfN3c1015Float8_e4m3fnuzELi64ELi4ELi16ELi16ELi1ELi3EEviiiPKT0_S5_PT_PKfS9_ii, 298

	.type	__PRETTY_FUNCTION__._Z13wvSplitKQ_hf_I6__halfN3c1015Float8_e4m3fnuzELi64ELi7ELi16ELi16ELi1ELi3EEviiiPKT0_S5_PT_PKfS9_ii,@object ; @__PRETTY_FUNCTION__._Z13wvSplitKQ_hf_I6__halfN3c1015Float8_e4m3fnuzELi64ELi7ELi16ELi16ELi1ELi3EEviiiPKT0_S5_PT_PKfS9_ii
__PRETTY_FUNCTION__._Z13wvSplitKQ_hf_I6__halfN3c1015Float8_e4m3fnuzELi64ELi7ELi16ELi16ELi1ELi3EEviiiPKT0_S5_PT_PKfS9_ii:
	.asciz	"void wvSplitKQ_hf_(const int, const int, const int, const fp8_t *, const fp8_t *__restrict, scalar_t *, const float *__restrict, const float *__restrict, const int, const int) [scalar_t = __half, fp8_t = c10::Float8_e4m3fnuz, THRDS = 64, YTILE = 7, WvPrGrp = 16, A_CHUNK = 16, UNRL = 1, N = 3]"
	.size	__PRETTY_FUNCTION__._Z13wvSplitKQ_hf_I6__halfN3c1015Float8_e4m3fnuzELi64ELi7ELi16ELi16ELi1ELi3EEviiiPKT0_S5_PT_PKfS9_ii, 294

	.type	__PRETTY_FUNCTION__._Z17wvSplitKQ_hf_sml_I6__halfN3c1015Float8_e4m3fnuzELi64ELi4ELi16ELi16ELi1ELi4EEviiiPKT0_S5_PT_PKfS9_ii,@object ; @__PRETTY_FUNCTION__._Z17wvSplitKQ_hf_sml_I6__halfN3c1015Float8_e4m3fnuzELi64ELi4ELi16ELi16ELi1ELi4EEviiiPKT0_S5_PT_PKfS9_ii
__PRETTY_FUNCTION__._Z17wvSplitKQ_hf_sml_I6__halfN3c1015Float8_e4m3fnuzELi64ELi4ELi16ELi16ELi1ELi4EEviiiPKT0_S5_PT_PKfS9_ii:
	.asciz	"void wvSplitKQ_hf_sml_(const int, const int, const int, const fp8_t *, const fp8_t *__restrict, scalar_t *, const float *__restrict, const float *__restrict, const int, const int) [scalar_t = __half, fp8_t = c10::Float8_e4m3fnuz, THRDS = 64, YTILE = 4, WvPrGrp = 16, A_CHUNK = 16, UNRL = 1, N = 4]"
	.size	__PRETTY_FUNCTION__._Z17wvSplitKQ_hf_sml_I6__halfN3c1015Float8_e4m3fnuzELi64ELi4ELi16ELi16ELi1ELi4EEviiiPKT0_S5_PT_PKfS9_ii, 298

	.type	__PRETTY_FUNCTION__._Z13wvSplitKQ_hf_I6__halfN3c1015Float8_e4m3fnuzELi64ELi7ELi16ELi16ELi1ELi4EEviiiPKT0_S5_PT_PKfS9_ii,@object ; @__PRETTY_FUNCTION__._Z13wvSplitKQ_hf_I6__halfN3c1015Float8_e4m3fnuzELi64ELi7ELi16ELi16ELi1ELi4EEviiiPKT0_S5_PT_PKfS9_ii
__PRETTY_FUNCTION__._Z13wvSplitKQ_hf_I6__halfN3c1015Float8_e4m3fnuzELi64ELi7ELi16ELi16ELi1ELi4EEviiiPKT0_S5_PT_PKfS9_ii:
	.asciz	"void wvSplitKQ_hf_(const int, const int, const int, const fp8_t *, const fp8_t *__restrict, scalar_t *, const float *__restrict, const float *__restrict, const int, const int) [scalar_t = __half, fp8_t = c10::Float8_e4m3fnuz, THRDS = 64, YTILE = 7, WvPrGrp = 16, A_CHUNK = 16, UNRL = 1, N = 4]"
	.size	__PRETTY_FUNCTION__._Z13wvSplitKQ_hf_I6__halfN3c1015Float8_e4m3fnuzELi64ELi7ELi16ELi16ELi1ELi4EEviiiPKT0_S5_PT_PKfS9_ii, 294

	.type	__PRETTY_FUNCTION__._Z17wvSplitKQ_hf_sml_I14__hip_bfloat16N3c1013Float8_e4m3fnELi64ELi2ELi16ELi16ELi2ELi1EEviiiPKT0_S5_PT_PKfS9_ii,@object ; @__PRETTY_FUNCTION__._Z17wvSplitKQ_hf_sml_I14__hip_bfloat16N3c1013Float8_e4m3fnELi64ELi2ELi16ELi16ELi2ELi1EEviiiPKT0_S5_PT_PKfS9_ii
__PRETTY_FUNCTION__._Z17wvSplitKQ_hf_sml_I14__hip_bfloat16N3c1013Float8_e4m3fnELi64ELi2ELi16ELi16ELi2ELi1EEviiiPKT0_S5_PT_PKfS9_ii:
	.asciz	"void wvSplitKQ_hf_sml_(const int, const int, const int, const fp8_t *, const fp8_t *__restrict, scalar_t *, const float *__restrict, const float *__restrict, const int, const int) [scalar_t = __hip_bfloat16, fp8_t = c10::Float8_e4m3fn, THRDS = 64, YTILE = 2, WvPrGrp = 16, A_CHUNK = 16, UNRL = 2, N = 1]"
	.size	__PRETTY_FUNCTION__._Z17wvSplitKQ_hf_sml_I14__hip_bfloat16N3c1013Float8_e4m3fnELi64ELi2ELi16ELi16ELi2ELi1EEviiiPKT0_S5_PT_PKfS9_ii, 304

	.type	__PRETTY_FUNCTION__._Z13wvSplitKQ_hf_I14__hip_bfloat16N3c1013Float8_e4m3fnELi64ELi2ELi16ELi16ELi2ELi1EEviiiPKT0_S5_PT_PKfS9_ii,@object ; @__PRETTY_FUNCTION__._Z13wvSplitKQ_hf_I14__hip_bfloat16N3c1013Float8_e4m3fnELi64ELi2ELi16ELi16ELi2ELi1EEviiiPKT0_S5_PT_PKfS9_ii
__PRETTY_FUNCTION__._Z13wvSplitKQ_hf_I14__hip_bfloat16N3c1013Float8_e4m3fnELi64ELi2ELi16ELi16ELi2ELi1EEviiiPKT0_S5_PT_PKfS9_ii:
	.asciz	"void wvSplitKQ_hf_(const int, const int, const int, const fp8_t *, const fp8_t *__restrict, scalar_t *, const float *__restrict, const float *__restrict, const int, const int) [scalar_t = __hip_bfloat16, fp8_t = c10::Float8_e4m3fn, THRDS = 64, YTILE = 2, WvPrGrp = 16, A_CHUNK = 16, UNRL = 2, N = 1]"
	.size	__PRETTY_FUNCTION__._Z13wvSplitKQ_hf_I14__hip_bfloat16N3c1013Float8_e4m3fnELi64ELi2ELi16ELi16ELi2ELi1EEviiiPKT0_S5_PT_PKfS9_ii, 300

	.type	__PRETTY_FUNCTION__._Z17wvSplitKQ_hf_sml_I14__hip_bfloat16N3c1013Float8_e4m3fnELi64ELi2ELi16ELi16ELi2ELi2EEviiiPKT0_S5_PT_PKfS9_ii,@object ; @__PRETTY_FUNCTION__._Z17wvSplitKQ_hf_sml_I14__hip_bfloat16N3c1013Float8_e4m3fnELi64ELi2ELi16ELi16ELi2ELi2EEviiiPKT0_S5_PT_PKfS9_ii
__PRETTY_FUNCTION__._Z17wvSplitKQ_hf_sml_I14__hip_bfloat16N3c1013Float8_e4m3fnELi64ELi2ELi16ELi16ELi2ELi2EEviiiPKT0_S5_PT_PKfS9_ii:
	.asciz	"void wvSplitKQ_hf_sml_(const int, const int, const int, const fp8_t *, const fp8_t *__restrict, scalar_t *, const float *__restrict, const float *__restrict, const int, const int) [scalar_t = __hip_bfloat16, fp8_t = c10::Float8_e4m3fn, THRDS = 64, YTILE = 2, WvPrGrp = 16, A_CHUNK = 16, UNRL = 2, N = 2]"
	.size	__PRETTY_FUNCTION__._Z17wvSplitKQ_hf_sml_I14__hip_bfloat16N3c1013Float8_e4m3fnELi64ELi2ELi16ELi16ELi2ELi2EEviiiPKT0_S5_PT_PKfS9_ii, 304

	.type	__PRETTY_FUNCTION__._Z13wvSplitKQ_hf_I14__hip_bfloat16N3c1013Float8_e4m3fnELi64ELi2ELi16ELi16ELi2ELi2EEviiiPKT0_S5_PT_PKfS9_ii,@object ; @__PRETTY_FUNCTION__._Z13wvSplitKQ_hf_I14__hip_bfloat16N3c1013Float8_e4m3fnELi64ELi2ELi16ELi16ELi2ELi2EEviiiPKT0_S5_PT_PKfS9_ii
__PRETTY_FUNCTION__._Z13wvSplitKQ_hf_I14__hip_bfloat16N3c1013Float8_e4m3fnELi64ELi2ELi16ELi16ELi2ELi2EEviiiPKT0_S5_PT_PKfS9_ii:
	.asciz	"void wvSplitKQ_hf_(const int, const int, const int, const fp8_t *, const fp8_t *__restrict, scalar_t *, const float *__restrict, const float *__restrict, const int, const int) [scalar_t = __hip_bfloat16, fp8_t = c10::Float8_e4m3fn, THRDS = 64, YTILE = 2, WvPrGrp = 16, A_CHUNK = 16, UNRL = 2, N = 2]"
	.size	__PRETTY_FUNCTION__._Z13wvSplitKQ_hf_I14__hip_bfloat16N3c1013Float8_e4m3fnELi64ELi2ELi16ELi16ELi2ELi2EEviiiPKT0_S5_PT_PKfS9_ii, 300

	.type	__PRETTY_FUNCTION__._Z17wvSplitKQ_hf_sml_I14__hip_bfloat16N3c1013Float8_e4m3fnELi64ELi4ELi16ELi16ELi1ELi3EEviiiPKT0_S5_PT_PKfS9_ii,@object ; @__PRETTY_FUNCTION__._Z17wvSplitKQ_hf_sml_I14__hip_bfloat16N3c1013Float8_e4m3fnELi64ELi4ELi16ELi16ELi1ELi3EEviiiPKT0_S5_PT_PKfS9_ii
__PRETTY_FUNCTION__._Z17wvSplitKQ_hf_sml_I14__hip_bfloat16N3c1013Float8_e4m3fnELi64ELi4ELi16ELi16ELi1ELi3EEviiiPKT0_S5_PT_PKfS9_ii:
	.asciz	"void wvSplitKQ_hf_sml_(const int, const int, const int, const fp8_t *, const fp8_t *__restrict, scalar_t *, const float *__restrict, const float *__restrict, const int, const int) [scalar_t = __hip_bfloat16, fp8_t = c10::Float8_e4m3fn, THRDS = 64, YTILE = 4, WvPrGrp = 16, A_CHUNK = 16, UNRL = 1, N = 3]"
	.size	__PRETTY_FUNCTION__._Z17wvSplitKQ_hf_sml_I14__hip_bfloat16N3c1013Float8_e4m3fnELi64ELi4ELi16ELi16ELi1ELi3EEviiiPKT0_S5_PT_PKfS9_ii, 304

	.type	__PRETTY_FUNCTION__._Z13wvSplitKQ_hf_I14__hip_bfloat16N3c1013Float8_e4m3fnELi64ELi7ELi16ELi16ELi1ELi3EEviiiPKT0_S5_PT_PKfS9_ii,@object ; @__PRETTY_FUNCTION__._Z13wvSplitKQ_hf_I14__hip_bfloat16N3c1013Float8_e4m3fnELi64ELi7ELi16ELi16ELi1ELi3EEviiiPKT0_S5_PT_PKfS9_ii
__PRETTY_FUNCTION__._Z13wvSplitKQ_hf_I14__hip_bfloat16N3c1013Float8_e4m3fnELi64ELi7ELi16ELi16ELi1ELi3EEviiiPKT0_S5_PT_PKfS9_ii:
	.asciz	"void wvSplitKQ_hf_(const int, const int, const int, const fp8_t *, const fp8_t *__restrict, scalar_t *, const float *__restrict, const float *__restrict, const int, const int) [scalar_t = __hip_bfloat16, fp8_t = c10::Float8_e4m3fn, THRDS = 64, YTILE = 7, WvPrGrp = 16, A_CHUNK = 16, UNRL = 1, N = 3]"
	.size	__PRETTY_FUNCTION__._Z13wvSplitKQ_hf_I14__hip_bfloat16N3c1013Float8_e4m3fnELi64ELi7ELi16ELi16ELi1ELi3EEviiiPKT0_S5_PT_PKfS9_ii, 300

	.type	__PRETTY_FUNCTION__._Z17wvSplitKQ_hf_sml_I14__hip_bfloat16N3c1013Float8_e4m3fnELi64ELi4ELi16ELi16ELi1ELi4EEviiiPKT0_S5_PT_PKfS9_ii,@object ; @__PRETTY_FUNCTION__._Z17wvSplitKQ_hf_sml_I14__hip_bfloat16N3c1013Float8_e4m3fnELi64ELi4ELi16ELi16ELi1ELi4EEviiiPKT0_S5_PT_PKfS9_ii
__PRETTY_FUNCTION__._Z17wvSplitKQ_hf_sml_I14__hip_bfloat16N3c1013Float8_e4m3fnELi64ELi4ELi16ELi16ELi1ELi4EEviiiPKT0_S5_PT_PKfS9_ii:
	.asciz	"void wvSplitKQ_hf_sml_(const int, const int, const int, const fp8_t *, const fp8_t *__restrict, scalar_t *, const float *__restrict, const float *__restrict, const int, const int) [scalar_t = __hip_bfloat16, fp8_t = c10::Float8_e4m3fn, THRDS = 64, YTILE = 4, WvPrGrp = 16, A_CHUNK = 16, UNRL = 1, N = 4]"
	.size	__PRETTY_FUNCTION__._Z17wvSplitKQ_hf_sml_I14__hip_bfloat16N3c1013Float8_e4m3fnELi64ELi4ELi16ELi16ELi1ELi4EEviiiPKT0_S5_PT_PKfS9_ii, 304

	.type	__PRETTY_FUNCTION__._Z13wvSplitKQ_hf_I14__hip_bfloat16N3c1013Float8_e4m3fnELi64ELi7ELi16ELi16ELi1ELi4EEviiiPKT0_S5_PT_PKfS9_ii,@object ; @__PRETTY_FUNCTION__._Z13wvSplitKQ_hf_I14__hip_bfloat16N3c1013Float8_e4m3fnELi64ELi7ELi16ELi16ELi1ELi4EEviiiPKT0_S5_PT_PKfS9_ii
__PRETTY_FUNCTION__._Z13wvSplitKQ_hf_I14__hip_bfloat16N3c1013Float8_e4m3fnELi64ELi7ELi16ELi16ELi1ELi4EEviiiPKT0_S5_PT_PKfS9_ii:
	.asciz	"void wvSplitKQ_hf_(const int, const int, const int, const fp8_t *, const fp8_t *__restrict, scalar_t *, const float *__restrict, const float *__restrict, const int, const int) [scalar_t = __hip_bfloat16, fp8_t = c10::Float8_e4m3fn, THRDS = 64, YTILE = 7, WvPrGrp = 16, A_CHUNK = 16, UNRL = 1, N = 4]"
	.size	__PRETTY_FUNCTION__._Z13wvSplitKQ_hf_I14__hip_bfloat16N3c1013Float8_e4m3fnELi64ELi7ELi16ELi16ELi1ELi4EEviiiPKT0_S5_PT_PKfS9_ii, 300

	.type	__PRETTY_FUNCTION__._Z17wvSplitKQ_hf_sml_I14__hip_bfloat16N3c1015Float8_e4m3fnuzELi64ELi2ELi16ELi16ELi2ELi1EEviiiPKT0_S5_PT_PKfS9_ii,@object ; @__PRETTY_FUNCTION__._Z17wvSplitKQ_hf_sml_I14__hip_bfloat16N3c1015Float8_e4m3fnuzELi64ELi2ELi16ELi16ELi2ELi1EEviiiPKT0_S5_PT_PKfS9_ii
__PRETTY_FUNCTION__._Z17wvSplitKQ_hf_sml_I14__hip_bfloat16N3c1015Float8_e4m3fnuzELi64ELi2ELi16ELi16ELi2ELi1EEviiiPKT0_S5_PT_PKfS9_ii:
	.asciz	"void wvSplitKQ_hf_sml_(const int, const int, const int, const fp8_t *, const fp8_t *__restrict, scalar_t *, const float *__restrict, const float *__restrict, const int, const int) [scalar_t = __hip_bfloat16, fp8_t = c10::Float8_e4m3fnuz, THRDS = 64, YTILE = 2, WvPrGrp = 16, A_CHUNK = 16, UNRL = 2, N = 1]"
	.size	__PRETTY_FUNCTION__._Z17wvSplitKQ_hf_sml_I14__hip_bfloat16N3c1015Float8_e4m3fnuzELi64ELi2ELi16ELi16ELi2ELi1EEviiiPKT0_S5_PT_PKfS9_ii, 306

	.type	__PRETTY_FUNCTION__._Z13wvSplitKQ_hf_I14__hip_bfloat16N3c1015Float8_e4m3fnuzELi64ELi2ELi16ELi16ELi2ELi1EEviiiPKT0_S5_PT_PKfS9_ii,@object ; @__PRETTY_FUNCTION__._Z13wvSplitKQ_hf_I14__hip_bfloat16N3c1015Float8_e4m3fnuzELi64ELi2ELi16ELi16ELi2ELi1EEviiiPKT0_S5_PT_PKfS9_ii
__PRETTY_FUNCTION__._Z13wvSplitKQ_hf_I14__hip_bfloat16N3c1015Float8_e4m3fnuzELi64ELi2ELi16ELi16ELi2ELi1EEviiiPKT0_S5_PT_PKfS9_ii:
	.asciz	"void wvSplitKQ_hf_(const int, const int, const int, const fp8_t *, const fp8_t *__restrict, scalar_t *, const float *__restrict, const float *__restrict, const int, const int) [scalar_t = __hip_bfloat16, fp8_t = c10::Float8_e4m3fnuz, THRDS = 64, YTILE = 2, WvPrGrp = 16, A_CHUNK = 16, UNRL = 2, N = 1]"
	.size	__PRETTY_FUNCTION__._Z13wvSplitKQ_hf_I14__hip_bfloat16N3c1015Float8_e4m3fnuzELi64ELi2ELi16ELi16ELi2ELi1EEviiiPKT0_S5_PT_PKfS9_ii, 302

	.type	__PRETTY_FUNCTION__._Z17wvSplitKQ_hf_sml_I14__hip_bfloat16N3c1015Float8_e4m3fnuzELi64ELi2ELi16ELi16ELi2ELi2EEviiiPKT0_S5_PT_PKfS9_ii,@object ; @__PRETTY_FUNCTION__._Z17wvSplitKQ_hf_sml_I14__hip_bfloat16N3c1015Float8_e4m3fnuzELi64ELi2ELi16ELi16ELi2ELi2EEviiiPKT0_S5_PT_PKfS9_ii
__PRETTY_FUNCTION__._Z17wvSplitKQ_hf_sml_I14__hip_bfloat16N3c1015Float8_e4m3fnuzELi64ELi2ELi16ELi16ELi2ELi2EEviiiPKT0_S5_PT_PKfS9_ii:
	.asciz	"void wvSplitKQ_hf_sml_(const int, const int, const int, const fp8_t *, const fp8_t *__restrict, scalar_t *, const float *__restrict, const float *__restrict, const int, const int) [scalar_t = __hip_bfloat16, fp8_t = c10::Float8_e4m3fnuz, THRDS = 64, YTILE = 2, WvPrGrp = 16, A_CHUNK = 16, UNRL = 2, N = 2]"
	.size	__PRETTY_FUNCTION__._Z17wvSplitKQ_hf_sml_I14__hip_bfloat16N3c1015Float8_e4m3fnuzELi64ELi2ELi16ELi16ELi2ELi2EEviiiPKT0_S5_PT_PKfS9_ii, 306

	.type	__PRETTY_FUNCTION__._Z13wvSplitKQ_hf_I14__hip_bfloat16N3c1015Float8_e4m3fnuzELi64ELi2ELi16ELi16ELi2ELi2EEviiiPKT0_S5_PT_PKfS9_ii,@object ; @__PRETTY_FUNCTION__._Z13wvSplitKQ_hf_I14__hip_bfloat16N3c1015Float8_e4m3fnuzELi64ELi2ELi16ELi16ELi2ELi2EEviiiPKT0_S5_PT_PKfS9_ii
__PRETTY_FUNCTION__._Z13wvSplitKQ_hf_I14__hip_bfloat16N3c1015Float8_e4m3fnuzELi64ELi2ELi16ELi16ELi2ELi2EEviiiPKT0_S5_PT_PKfS9_ii:
	.asciz	"void wvSplitKQ_hf_(const int, const int, const int, const fp8_t *, const fp8_t *__restrict, scalar_t *, const float *__restrict, const float *__restrict, const int, const int) [scalar_t = __hip_bfloat16, fp8_t = c10::Float8_e4m3fnuz, THRDS = 64, YTILE = 2, WvPrGrp = 16, A_CHUNK = 16, UNRL = 2, N = 2]"
	.size	__PRETTY_FUNCTION__._Z13wvSplitKQ_hf_I14__hip_bfloat16N3c1015Float8_e4m3fnuzELi64ELi2ELi16ELi16ELi2ELi2EEviiiPKT0_S5_PT_PKfS9_ii, 302

	.type	__PRETTY_FUNCTION__._Z17wvSplitKQ_hf_sml_I14__hip_bfloat16N3c1015Float8_e4m3fnuzELi64ELi4ELi16ELi16ELi1ELi3EEviiiPKT0_S5_PT_PKfS9_ii,@object ; @__PRETTY_FUNCTION__._Z17wvSplitKQ_hf_sml_I14__hip_bfloat16N3c1015Float8_e4m3fnuzELi64ELi4ELi16ELi16ELi1ELi3EEviiiPKT0_S5_PT_PKfS9_ii
__PRETTY_FUNCTION__._Z17wvSplitKQ_hf_sml_I14__hip_bfloat16N3c1015Float8_e4m3fnuzELi64ELi4ELi16ELi16ELi1ELi3EEviiiPKT0_S5_PT_PKfS9_ii:
	.asciz	"void wvSplitKQ_hf_sml_(const int, const int, const int, const fp8_t *, const fp8_t *__restrict, scalar_t *, const float *__restrict, const float *__restrict, const int, const int) [scalar_t = __hip_bfloat16, fp8_t = c10::Float8_e4m3fnuz, THRDS = 64, YTILE = 4, WvPrGrp = 16, A_CHUNK = 16, UNRL = 1, N = 3]"
	.size	__PRETTY_FUNCTION__._Z17wvSplitKQ_hf_sml_I14__hip_bfloat16N3c1015Float8_e4m3fnuzELi64ELi4ELi16ELi16ELi1ELi3EEviiiPKT0_S5_PT_PKfS9_ii, 306

	.type	__PRETTY_FUNCTION__._Z13wvSplitKQ_hf_I14__hip_bfloat16N3c1015Float8_e4m3fnuzELi64ELi7ELi16ELi16ELi1ELi3EEviiiPKT0_S5_PT_PKfS9_ii,@object ; @__PRETTY_FUNCTION__._Z13wvSplitKQ_hf_I14__hip_bfloat16N3c1015Float8_e4m3fnuzELi64ELi7ELi16ELi16ELi1ELi3EEviiiPKT0_S5_PT_PKfS9_ii
__PRETTY_FUNCTION__._Z13wvSplitKQ_hf_I14__hip_bfloat16N3c1015Float8_e4m3fnuzELi64ELi7ELi16ELi16ELi1ELi3EEviiiPKT0_S5_PT_PKfS9_ii:
	.asciz	"void wvSplitKQ_hf_(const int, const int, const int, const fp8_t *, const fp8_t *__restrict, scalar_t *, const float *__restrict, const float *__restrict, const int, const int) [scalar_t = __hip_bfloat16, fp8_t = c10::Float8_e4m3fnuz, THRDS = 64, YTILE = 7, WvPrGrp = 16, A_CHUNK = 16, UNRL = 1, N = 3]"
	.size	__PRETTY_FUNCTION__._Z13wvSplitKQ_hf_I14__hip_bfloat16N3c1015Float8_e4m3fnuzELi64ELi7ELi16ELi16ELi1ELi3EEviiiPKT0_S5_PT_PKfS9_ii, 302

	.type	__PRETTY_FUNCTION__._Z17wvSplitKQ_hf_sml_I14__hip_bfloat16N3c1015Float8_e4m3fnuzELi64ELi4ELi16ELi16ELi1ELi4EEviiiPKT0_S5_PT_PKfS9_ii,@object ; @__PRETTY_FUNCTION__._Z17wvSplitKQ_hf_sml_I14__hip_bfloat16N3c1015Float8_e4m3fnuzELi64ELi4ELi16ELi16ELi1ELi4EEviiiPKT0_S5_PT_PKfS9_ii
__PRETTY_FUNCTION__._Z17wvSplitKQ_hf_sml_I14__hip_bfloat16N3c1015Float8_e4m3fnuzELi64ELi4ELi16ELi16ELi1ELi4EEviiiPKT0_S5_PT_PKfS9_ii:
	.asciz	"void wvSplitKQ_hf_sml_(const int, const int, const int, const fp8_t *, const fp8_t *__restrict, scalar_t *, const float *__restrict, const float *__restrict, const int, const int) [scalar_t = __hip_bfloat16, fp8_t = c10::Float8_e4m3fnuz, THRDS = 64, YTILE = 4, WvPrGrp = 16, A_CHUNK = 16, UNRL = 1, N = 4]"
	.size	__PRETTY_FUNCTION__._Z17wvSplitKQ_hf_sml_I14__hip_bfloat16N3c1015Float8_e4m3fnuzELi64ELi4ELi16ELi16ELi1ELi4EEviiiPKT0_S5_PT_PKfS9_ii, 306

	.type	__PRETTY_FUNCTION__._Z13wvSplitKQ_hf_I14__hip_bfloat16N3c1015Float8_e4m3fnuzELi64ELi7ELi16ELi16ELi1ELi4EEviiiPKT0_S5_PT_PKfS9_ii,@object ; @__PRETTY_FUNCTION__._Z13wvSplitKQ_hf_I14__hip_bfloat16N3c1015Float8_e4m3fnuzELi64ELi7ELi16ELi16ELi1ELi4EEviiiPKT0_S5_PT_PKfS9_ii
__PRETTY_FUNCTION__._Z13wvSplitKQ_hf_I14__hip_bfloat16N3c1015Float8_e4m3fnuzELi64ELi7ELi16ELi16ELi1ELi4EEviiiPKT0_S5_PT_PKfS9_ii:
	.asciz	"void wvSplitKQ_hf_(const int, const int, const int, const fp8_t *, const fp8_t *__restrict, scalar_t *, const float *__restrict, const float *__restrict, const int, const int) [scalar_t = __hip_bfloat16, fp8_t = c10::Float8_e4m3fnuz, THRDS = 64, YTILE = 7, WvPrGrp = 16, A_CHUNK = 16, UNRL = 1, N = 4]"
	.size	__PRETTY_FUNCTION__._Z13wvSplitKQ_hf_I14__hip_bfloat16N3c1015Float8_e4m3fnuzELi64ELi7ELi16ELi16ELi1ELi4EEviiiPKT0_S5_PT_PKfS9_ii, 302

	.type	__hip_cuid_ee48535b2c172f9,@object ; @__hip_cuid_ee48535b2c172f9
	.section	.bss,"aw",@nobits
	.globl	__hip_cuid_ee48535b2c172f9
__hip_cuid_ee48535b2c172f9:
	.byte	0                               ; 0x0
	.size	__hip_cuid_ee48535b2c172f9, 1

	.ident	"AMD clang version 19.0.0git (https://github.com/RadeonOpenCompute/llvm-project roc-6.4.0 25133 c7fe45cf4b819c5991fe208aaa96edf142730f1d)"
	.section	".note.GNU-stack","",@progbits
	.addrsig
	.addrsig_sym __hip_cuid_ee48535b2c172f9
	.amdgpu_metadata
---
amdhsa.kernels:
  - .args:
      - .address_space:  global
        .offset:         0
        .size:           8
        .value_kind:     global_buffer
      - .address_space:  global
        .offset:         8
        .size:           8
        .value_kind:     global_buffer
      - .address_space:  global
        .offset:         16
        .size:           8
        .value_kind:     global_buffer
      - .offset:         24
        .size:           4
        .value_kind:     by_value
      - .offset:         32
        .size:           4
        .value_kind:     hidden_block_count_x
      - .offset:         36
        .size:           4
        .value_kind:     hidden_block_count_y
      - .offset:         40
        .size:           4
        .value_kind:     hidden_block_count_z
      - .offset:         44
        .size:           2
        .value_kind:     hidden_group_size_x
      - .offset:         46
        .size:           2
        .value_kind:     hidden_group_size_y
      - .offset:         48
        .size:           2
        .value_kind:     hidden_group_size_z
      - .offset:         50
        .size:           2
        .value_kind:     hidden_remainder_x
      - .offset:         52
        .size:           2
        .value_kind:     hidden_remainder_y
      - .offset:         54
        .size:           2
        .value_kind:     hidden_remainder_z
      - .offset:         72
        .size:           8
        .value_kind:     hidden_global_offset_x
      - .offset:         80
        .size:           8
        .value_kind:     hidden_global_offset_y
      - .offset:         88
        .size:           8
        .value_kind:     hidden_global_offset_z
      - .offset:         96
        .size:           2
        .value_kind:     hidden_grid_dims
    .group_segment_fixed_size: 256
    .kernarg_segment_align: 8
    .kernarg_segment_size: 288
    .language:       OpenCL C
    .language_version:
      - 2
      - 0
    .max_flat_workgroup_size: 1024
    .name:           _Z14LLGemm1_kernelIN3c104HalfELi2EEvPKT_S4_PS2_i
    .private_segment_fixed_size: 0
    .sgpr_count:     18
    .sgpr_spill_count: 0
    .symbol:         _Z14LLGemm1_kernelIN3c104HalfELi2EEvPKT_S4_PS2_i.kd
    .uniform_work_group_size: 1
    .uses_dynamic_stack: false
    .vgpr_count:     15
    .vgpr_spill_count: 0
    .wavefront_size: 32
    .workgroup_processor_mode: 1
  - .args:
      - .address_space:  global
        .offset:         0
        .size:           8
        .value_kind:     global_buffer
      - .address_space:  global
        .offset:         8
        .size:           8
        .value_kind:     global_buffer
      - .address_space:  global
        .offset:         16
        .size:           8
        .value_kind:     global_buffer
      - .offset:         24
        .size:           4
        .value_kind:     by_value
      - .offset:         32
        .size:           4
        .value_kind:     hidden_block_count_x
      - .offset:         36
        .size:           4
        .value_kind:     hidden_block_count_y
      - .offset:         40
        .size:           4
        .value_kind:     hidden_block_count_z
      - .offset:         44
        .size:           2
        .value_kind:     hidden_group_size_x
      - .offset:         46
        .size:           2
        .value_kind:     hidden_group_size_y
      - .offset:         48
        .size:           2
        .value_kind:     hidden_group_size_z
      - .offset:         50
        .size:           2
        .value_kind:     hidden_remainder_x
      - .offset:         52
        .size:           2
        .value_kind:     hidden_remainder_y
      - .offset:         54
        .size:           2
        .value_kind:     hidden_remainder_z
      - .offset:         72
        .size:           8
        .value_kind:     hidden_global_offset_x
      - .offset:         80
        .size:           8
        .value_kind:     hidden_global_offset_y
      - .offset:         88
        .size:           8
        .value_kind:     hidden_global_offset_z
      - .offset:         96
        .size:           2
        .value_kind:     hidden_grid_dims
    .group_segment_fixed_size: 512
    .kernarg_segment_align: 8
    .kernarg_segment_size: 288
    .language:       OpenCL C
    .language_version:
      - 2
      - 0
    .max_flat_workgroup_size: 1024
    .name:           _Z14LLGemm1_kernelIN3c104HalfELi4EEvPKT_S4_PS2_i
    .private_segment_fixed_size: 0
    .sgpr_count:     18
    .sgpr_spill_count: 0
    .symbol:         _Z14LLGemm1_kernelIN3c104HalfELi4EEvPKT_S4_PS2_i.kd
    .uniform_work_group_size: 1
    .uses_dynamic_stack: false
    .vgpr_count:     23
    .vgpr_spill_count: 0
    .wavefront_size: 32
    .workgroup_processor_mode: 1
  - .args:
      - .address_space:  global
        .offset:         0
        .size:           8
        .value_kind:     global_buffer
      - .address_space:  global
        .offset:         8
        .size:           8
        .value_kind:     global_buffer
      - .address_space:  global
        .offset:         16
        .size:           8
        .value_kind:     global_buffer
      - .offset:         24
        .size:           4
        .value_kind:     by_value
      - .offset:         32
        .size:           4
        .value_kind:     hidden_block_count_x
      - .offset:         36
        .size:           4
        .value_kind:     hidden_block_count_y
      - .offset:         40
        .size:           4
        .value_kind:     hidden_block_count_z
      - .offset:         44
        .size:           2
        .value_kind:     hidden_group_size_x
      - .offset:         46
        .size:           2
        .value_kind:     hidden_group_size_y
      - .offset:         48
        .size:           2
        .value_kind:     hidden_group_size_z
      - .offset:         50
        .size:           2
        .value_kind:     hidden_remainder_x
      - .offset:         52
        .size:           2
        .value_kind:     hidden_remainder_y
      - .offset:         54
        .size:           2
        .value_kind:     hidden_remainder_z
      - .offset:         72
        .size:           8
        .value_kind:     hidden_global_offset_x
      - .offset:         80
        .size:           8
        .value_kind:     hidden_global_offset_y
      - .offset:         88
        .size:           8
        .value_kind:     hidden_global_offset_z
      - .offset:         96
        .size:           2
        .value_kind:     hidden_grid_dims
    .group_segment_fixed_size: 1024
    .kernarg_segment_align: 8
    .kernarg_segment_size: 288
    .language:       OpenCL C
    .language_version:
      - 2
      - 0
    .max_flat_workgroup_size: 1024
    .name:           _Z14LLGemm1_kernelIN3c104HalfELi8EEvPKT_S4_PS2_i
    .private_segment_fixed_size: 0
    .sgpr_count:     18
    .sgpr_spill_count: 0
    .symbol:         _Z14LLGemm1_kernelIN3c104HalfELi8EEvPKT_S4_PS2_i.kd
    .uniform_work_group_size: 1
    .uses_dynamic_stack: false
    .vgpr_count:     39
    .vgpr_spill_count: 0
    .wavefront_size: 32
    .workgroup_processor_mode: 1
  - .args:
      - .address_space:  global
        .offset:         0
        .size:           8
        .value_kind:     global_buffer
      - .address_space:  global
        .offset:         8
        .size:           8
        .value_kind:     global_buffer
      - .address_space:  global
        .offset:         16
        .size:           8
        .value_kind:     global_buffer
      - .offset:         24
        .size:           4
        .value_kind:     by_value
      - .offset:         32
        .size:           4
        .value_kind:     hidden_block_count_x
      - .offset:         36
        .size:           4
        .value_kind:     hidden_block_count_y
      - .offset:         40
        .size:           4
        .value_kind:     hidden_block_count_z
      - .offset:         44
        .size:           2
        .value_kind:     hidden_group_size_x
      - .offset:         46
        .size:           2
        .value_kind:     hidden_group_size_y
      - .offset:         48
        .size:           2
        .value_kind:     hidden_group_size_z
      - .offset:         50
        .size:           2
        .value_kind:     hidden_remainder_x
      - .offset:         52
        .size:           2
        .value_kind:     hidden_remainder_y
      - .offset:         54
        .size:           2
        .value_kind:     hidden_remainder_z
      - .offset:         72
        .size:           8
        .value_kind:     hidden_global_offset_x
      - .offset:         80
        .size:           8
        .value_kind:     hidden_global_offset_y
      - .offset:         88
        .size:           8
        .value_kind:     hidden_global_offset_z
      - .offset:         96
        .size:           2
        .value_kind:     hidden_grid_dims
    .group_segment_fixed_size: 2048
    .kernarg_segment_align: 8
    .kernarg_segment_size: 288
    .language:       OpenCL C
    .language_version:
      - 2
      - 0
    .max_flat_workgroup_size: 1024
    .name:           _Z14LLGemm1_kernelIN3c104HalfELi16EEvPKT_S4_PS2_i
    .private_segment_fixed_size: 0
    .sgpr_count:     20
    .sgpr_spill_count: 0
    .symbol:         _Z14LLGemm1_kernelIN3c104HalfELi16EEvPKT_S4_PS2_i.kd
    .uniform_work_group_size: 1
    .uses_dynamic_stack: false
    .vgpr_count:     71
    .vgpr_spill_count: 0
    .wavefront_size: 32
    .workgroup_processor_mode: 1
  - .args:
      - .address_space:  global
        .offset:         0
        .size:           8
        .value_kind:     global_buffer
      - .address_space:  global
        .offset:         8
        .size:           8
        .value_kind:     global_buffer
      - .address_space:  global
        .offset:         16
        .size:           8
        .value_kind:     global_buffer
      - .offset:         24
        .size:           4
        .value_kind:     by_value
      - .offset:         32
        .size:           4
        .value_kind:     hidden_block_count_x
      - .offset:         36
        .size:           4
        .value_kind:     hidden_block_count_y
      - .offset:         40
        .size:           4
        .value_kind:     hidden_block_count_z
      - .offset:         44
        .size:           2
        .value_kind:     hidden_group_size_x
      - .offset:         46
        .size:           2
        .value_kind:     hidden_group_size_y
      - .offset:         48
        .size:           2
        .value_kind:     hidden_group_size_z
      - .offset:         50
        .size:           2
        .value_kind:     hidden_remainder_x
      - .offset:         52
        .size:           2
        .value_kind:     hidden_remainder_y
      - .offset:         54
        .size:           2
        .value_kind:     hidden_remainder_z
      - .offset:         72
        .size:           8
        .value_kind:     hidden_global_offset_x
      - .offset:         80
        .size:           8
        .value_kind:     hidden_global_offset_y
      - .offset:         88
        .size:           8
        .value_kind:     hidden_global_offset_z
      - .offset:         96
        .size:           2
        .value_kind:     hidden_grid_dims
    .group_segment_fixed_size: 256
    .kernarg_segment_align: 8
    .kernarg_segment_size: 288
    .language:       OpenCL C
    .language_version:
      - 2
      - 0
    .max_flat_workgroup_size: 1024
    .name:           _Z14LLGemm1_kernelIN3c108BFloat16ELi2EEvPKT_S4_PS2_i
    .private_segment_fixed_size: 0
    .sgpr_count:     18
    .sgpr_spill_count: 0
    .symbol:         _Z14LLGemm1_kernelIN3c108BFloat16ELi2EEvPKT_S4_PS2_i.kd
    .uniform_work_group_size: 1
    .uses_dynamic_stack: false
    .vgpr_count:     21
    .vgpr_spill_count: 0
    .wavefront_size: 32
    .workgroup_processor_mode: 1
  - .args:
      - .address_space:  global
        .offset:         0
        .size:           8
        .value_kind:     global_buffer
      - .address_space:  global
        .offset:         8
        .size:           8
        .value_kind:     global_buffer
      - .address_space:  global
        .offset:         16
        .size:           8
        .value_kind:     global_buffer
      - .offset:         24
        .size:           4
        .value_kind:     by_value
      - .offset:         32
        .size:           4
        .value_kind:     hidden_block_count_x
      - .offset:         36
        .size:           4
        .value_kind:     hidden_block_count_y
      - .offset:         40
        .size:           4
        .value_kind:     hidden_block_count_z
      - .offset:         44
        .size:           2
        .value_kind:     hidden_group_size_x
      - .offset:         46
        .size:           2
        .value_kind:     hidden_group_size_y
      - .offset:         48
        .size:           2
        .value_kind:     hidden_group_size_z
      - .offset:         50
        .size:           2
        .value_kind:     hidden_remainder_x
      - .offset:         52
        .size:           2
        .value_kind:     hidden_remainder_y
      - .offset:         54
        .size:           2
        .value_kind:     hidden_remainder_z
      - .offset:         72
        .size:           8
        .value_kind:     hidden_global_offset_x
      - .offset:         80
        .size:           8
        .value_kind:     hidden_global_offset_y
      - .offset:         88
        .size:           8
        .value_kind:     hidden_global_offset_z
      - .offset:         96
        .size:           2
        .value_kind:     hidden_grid_dims
    .group_segment_fixed_size: 512
    .kernarg_segment_align: 8
    .kernarg_segment_size: 288
    .language:       OpenCL C
    .language_version:
      - 2
      - 0
    .max_flat_workgroup_size: 1024
    .name:           _Z14LLGemm1_kernelIN3c108BFloat16ELi4EEvPKT_S4_PS2_i
    .private_segment_fixed_size: 0
    .sgpr_count:     18
    .sgpr_spill_count: 0
    .symbol:         _Z14LLGemm1_kernelIN3c108BFloat16ELi4EEvPKT_S4_PS2_i.kd
    .uniform_work_group_size: 1
    .uses_dynamic_stack: false
    .vgpr_count:     29
    .vgpr_spill_count: 0
    .wavefront_size: 32
    .workgroup_processor_mode: 1
  - .args:
      - .address_space:  global
        .offset:         0
        .size:           8
        .value_kind:     global_buffer
      - .address_space:  global
        .offset:         8
        .size:           8
        .value_kind:     global_buffer
      - .address_space:  global
        .offset:         16
        .size:           8
        .value_kind:     global_buffer
      - .offset:         24
        .size:           4
        .value_kind:     by_value
      - .offset:         32
        .size:           4
        .value_kind:     hidden_block_count_x
      - .offset:         36
        .size:           4
        .value_kind:     hidden_block_count_y
      - .offset:         40
        .size:           4
        .value_kind:     hidden_block_count_z
      - .offset:         44
        .size:           2
        .value_kind:     hidden_group_size_x
      - .offset:         46
        .size:           2
        .value_kind:     hidden_group_size_y
      - .offset:         48
        .size:           2
        .value_kind:     hidden_group_size_z
      - .offset:         50
        .size:           2
        .value_kind:     hidden_remainder_x
      - .offset:         52
        .size:           2
        .value_kind:     hidden_remainder_y
      - .offset:         54
        .size:           2
        .value_kind:     hidden_remainder_z
      - .offset:         72
        .size:           8
        .value_kind:     hidden_global_offset_x
      - .offset:         80
        .size:           8
        .value_kind:     hidden_global_offset_y
      - .offset:         88
        .size:           8
        .value_kind:     hidden_global_offset_z
      - .offset:         96
        .size:           2
        .value_kind:     hidden_grid_dims
    .group_segment_fixed_size: 1024
    .kernarg_segment_align: 8
    .kernarg_segment_size: 288
    .language:       OpenCL C
    .language_version:
      - 2
      - 0
    .max_flat_workgroup_size: 1024
    .name:           _Z14LLGemm1_kernelIN3c108BFloat16ELi8EEvPKT_S4_PS2_i
    .private_segment_fixed_size: 0
    .sgpr_count:     18
    .sgpr_spill_count: 0
    .symbol:         _Z14LLGemm1_kernelIN3c108BFloat16ELi8EEvPKT_S4_PS2_i.kd
    .uniform_work_group_size: 1
    .uses_dynamic_stack: false
    .vgpr_count:     45
    .vgpr_spill_count: 0
    .wavefront_size: 32
    .workgroup_processor_mode: 1
  - .args:
      - .address_space:  global
        .offset:         0
        .size:           8
        .value_kind:     global_buffer
      - .address_space:  global
        .offset:         8
        .size:           8
        .value_kind:     global_buffer
      - .address_space:  global
        .offset:         16
        .size:           8
        .value_kind:     global_buffer
      - .offset:         24
        .size:           4
        .value_kind:     by_value
      - .offset:         32
        .size:           4
        .value_kind:     hidden_block_count_x
      - .offset:         36
        .size:           4
        .value_kind:     hidden_block_count_y
      - .offset:         40
        .size:           4
        .value_kind:     hidden_block_count_z
      - .offset:         44
        .size:           2
        .value_kind:     hidden_group_size_x
      - .offset:         46
        .size:           2
        .value_kind:     hidden_group_size_y
      - .offset:         48
        .size:           2
        .value_kind:     hidden_group_size_z
      - .offset:         50
        .size:           2
        .value_kind:     hidden_remainder_x
      - .offset:         52
        .size:           2
        .value_kind:     hidden_remainder_y
      - .offset:         54
        .size:           2
        .value_kind:     hidden_remainder_z
      - .offset:         72
        .size:           8
        .value_kind:     hidden_global_offset_x
      - .offset:         80
        .size:           8
        .value_kind:     hidden_global_offset_y
      - .offset:         88
        .size:           8
        .value_kind:     hidden_global_offset_z
      - .offset:         96
        .size:           2
        .value_kind:     hidden_grid_dims
    .group_segment_fixed_size: 2048
    .kernarg_segment_align: 8
    .kernarg_segment_size: 288
    .language:       OpenCL C
    .language_version:
      - 2
      - 0
    .max_flat_workgroup_size: 1024
    .name:           _Z14LLGemm1_kernelIN3c108BFloat16ELi16EEvPKT_S4_PS2_i
    .private_segment_fixed_size: 0
    .sgpr_count:     20
    .sgpr_spill_count: 0
    .symbol:         _Z14LLGemm1_kernelIN3c108BFloat16ELi16EEvPKT_S4_PS2_i.kd
    .uniform_work_group_size: 1
    .uses_dynamic_stack: false
    .vgpr_count:     77
    .vgpr_spill_count: 0
    .wavefront_size: 32
    .workgroup_processor_mode: 1
  - .args:
      - .offset:         0
        .size:           4
        .value_kind:     by_value
      - .offset:         4
        .size:           4
        .value_kind:     by_value
      - .address_space:  global
        .offset:         8
        .size:           8
        .value_kind:     global_buffer
      - .actual_access:  read_only
        .address_space:  global
        .offset:         16
        .size:           8
        .value_kind:     global_buffer
      - .address_space:  global
        .offset:         24
        .size:           8
        .value_kind:     global_buffer
      - .offset:         32
        .size:           4
        .value_kind:     by_value
      - .offset:         36
        .size:           4
        .value_kind:     by_value
      - .offset:         40
        .size:           4
        .value_kind:     hidden_block_count_x
      - .offset:         44
        .size:           4
        .value_kind:     hidden_block_count_y
      - .offset:         48
        .size:           4
        .value_kind:     hidden_block_count_z
      - .offset:         52
        .size:           2
        .value_kind:     hidden_group_size_x
      - .offset:         54
        .size:           2
        .value_kind:     hidden_group_size_y
      - .offset:         56
        .size:           2
        .value_kind:     hidden_group_size_z
      - .offset:         58
        .size:           2
        .value_kind:     hidden_remainder_x
      - .offset:         60
        .size:           2
        .value_kind:     hidden_remainder_y
      - .offset:         62
        .size:           2
        .value_kind:     hidden_remainder_z
      - .offset:         80
        .size:           8
        .value_kind:     hidden_global_offset_x
      - .offset:         88
        .size:           8
        .value_kind:     hidden_global_offset_y
      - .offset:         96
        .size:           8
        .value_kind:     hidden_global_offset_z
      - .offset:         104
        .size:           2
        .value_kind:     hidden_grid_dims
      - .offset:         120
        .size:           8
        .value_kind:     hidden_hostcall_buffer
    .group_segment_fixed_size: 0
    .kernarg_segment_align: 8
    .kernarg_segment_size: 296
    .language:       OpenCL C
    .language_version:
      - 2
      - 0
    .max_flat_workgroup_size: 1024
    .name:           _Z16wvSplitK_hf_sml_I6__halfLi64ELi2ELi16ELi8ELi2ELi1EEviiPKT_S3_PS1_ii
    .private_segment_fixed_size: 64
    .sgpr_count:     36
    .sgpr_spill_count: 0
    .symbol:         _Z16wvSplitK_hf_sml_I6__halfLi64ELi2ELi16ELi8ELi2ELi1EEviiPKT_S3_PS1_ii.kd
    .uniform_work_group_size: 1
    .uses_dynamic_stack: false
    .vgpr_count:     50
    .vgpr_spill_count: 0
    .wavefront_size: 32
    .workgroup_processor_mode: 1
  - .args:
      - .offset:         0
        .size:           4
        .value_kind:     by_value
      - .offset:         4
        .size:           4
        .value_kind:     by_value
      - .address_space:  global
        .offset:         8
        .size:           8
        .value_kind:     global_buffer
      - .actual_access:  read_only
        .address_space:  global
        .offset:         16
        .size:           8
        .value_kind:     global_buffer
      - .address_space:  global
        .offset:         24
        .size:           8
        .value_kind:     global_buffer
      - .offset:         32
        .size:           4
        .value_kind:     by_value
      - .offset:         36
        .size:           4
        .value_kind:     by_value
      - .offset:         40
        .size:           4
        .value_kind:     hidden_block_count_x
      - .offset:         44
        .size:           4
        .value_kind:     hidden_block_count_y
      - .offset:         48
        .size:           4
        .value_kind:     hidden_block_count_z
      - .offset:         52
        .size:           2
        .value_kind:     hidden_group_size_x
      - .offset:         54
        .size:           2
        .value_kind:     hidden_group_size_y
      - .offset:         56
        .size:           2
        .value_kind:     hidden_group_size_z
      - .offset:         58
        .size:           2
        .value_kind:     hidden_remainder_x
      - .offset:         60
        .size:           2
        .value_kind:     hidden_remainder_y
      - .offset:         62
        .size:           2
        .value_kind:     hidden_remainder_z
      - .offset:         80
        .size:           8
        .value_kind:     hidden_global_offset_x
      - .offset:         88
        .size:           8
        .value_kind:     hidden_global_offset_y
      - .offset:         96
        .size:           8
        .value_kind:     hidden_global_offset_z
      - .offset:         104
        .size:           2
        .value_kind:     hidden_grid_dims
      - .offset:         120
        .size:           8
        .value_kind:     hidden_hostcall_buffer
    .group_segment_fixed_size: 0
    .kernarg_segment_align: 8
    .kernarg_segment_size: 296
    .language:       OpenCL C
    .language_version:
      - 2
      - 0
    .max_flat_workgroup_size: 1024
    .name:           _Z12wvSplitK_hf_I6__halfLi64ELi2ELi16ELi8ELi2ELi1EEviiPKT_S3_PS1_ii
    .private_segment_fixed_size: 64
    .sgpr_count:     36
    .sgpr_spill_count: 0
    .symbol:         _Z12wvSplitK_hf_I6__halfLi64ELi2ELi16ELi8ELi2ELi1EEviiPKT_S3_PS1_ii.kd
    .uniform_work_group_size: 1
    .uses_dynamic_stack: false
    .vgpr_count:     50
    .vgpr_spill_count: 0
    .wavefront_size: 32
    .workgroup_processor_mode: 1
  - .args:
      - .offset:         0
        .size:           4
        .value_kind:     by_value
      - .offset:         4
        .size:           4
        .value_kind:     by_value
      - .address_space:  global
        .offset:         8
        .size:           8
        .value_kind:     global_buffer
      - .actual_access:  read_only
        .address_space:  global
        .offset:         16
        .size:           8
        .value_kind:     global_buffer
      - .address_space:  global
        .offset:         24
        .size:           8
        .value_kind:     global_buffer
      - .offset:         32
        .size:           4
        .value_kind:     by_value
      - .offset:         36
        .size:           4
        .value_kind:     by_value
      - .offset:         40
        .size:           4
        .value_kind:     hidden_block_count_x
      - .offset:         44
        .size:           4
        .value_kind:     hidden_block_count_y
      - .offset:         48
        .size:           4
        .value_kind:     hidden_block_count_z
      - .offset:         52
        .size:           2
        .value_kind:     hidden_group_size_x
      - .offset:         54
        .size:           2
        .value_kind:     hidden_group_size_y
      - .offset:         56
        .size:           2
        .value_kind:     hidden_group_size_z
      - .offset:         58
        .size:           2
        .value_kind:     hidden_remainder_x
      - .offset:         60
        .size:           2
        .value_kind:     hidden_remainder_y
      - .offset:         62
        .size:           2
        .value_kind:     hidden_remainder_z
      - .offset:         80
        .size:           8
        .value_kind:     hidden_global_offset_x
      - .offset:         88
        .size:           8
        .value_kind:     hidden_global_offset_y
      - .offset:         96
        .size:           8
        .value_kind:     hidden_global_offset_z
      - .offset:         104
        .size:           2
        .value_kind:     hidden_grid_dims
      - .offset:         120
        .size:           8
        .value_kind:     hidden_hostcall_buffer
    .group_segment_fixed_size: 0
    .kernarg_segment_align: 8
    .kernarg_segment_size: 296
    .language:       OpenCL C
    .language_version:
      - 2
      - 0
    .max_flat_workgroup_size: 1024
    .name:           _Z16wvSplitK_hf_big_I6__halfLi64ELi2ELi16ELi8ELi2ELi1EEviiPKT_S3_PS1_ii
    .private_segment_fixed_size: 64
    .sgpr_count:     36
    .sgpr_spill_count: 0
    .symbol:         _Z16wvSplitK_hf_big_I6__halfLi64ELi2ELi16ELi8ELi2ELi1EEviiPKT_S3_PS1_ii.kd
    .uniform_work_group_size: 1
    .uses_dynamic_stack: false
    .vgpr_count:     50
    .vgpr_spill_count: 0
    .wavefront_size: 32
    .workgroup_processor_mode: 1
  - .args:
      - .offset:         0
        .size:           4
        .value_kind:     by_value
      - .offset:         4
        .size:           4
        .value_kind:     by_value
      - .address_space:  global
        .offset:         8
        .size:           8
        .value_kind:     global_buffer
      - .actual_access:  read_only
        .address_space:  global
        .offset:         16
        .size:           8
        .value_kind:     global_buffer
      - .address_space:  global
        .offset:         24
        .size:           8
        .value_kind:     global_buffer
      - .offset:         32
        .size:           4
        .value_kind:     by_value
      - .offset:         36
        .size:           4
        .value_kind:     by_value
      - .offset:         40
        .size:           4
        .value_kind:     hidden_block_count_x
      - .offset:         44
        .size:           4
        .value_kind:     hidden_block_count_y
      - .offset:         48
        .size:           4
        .value_kind:     hidden_block_count_z
      - .offset:         52
        .size:           2
        .value_kind:     hidden_group_size_x
      - .offset:         54
        .size:           2
        .value_kind:     hidden_group_size_y
      - .offset:         56
        .size:           2
        .value_kind:     hidden_group_size_z
      - .offset:         58
        .size:           2
        .value_kind:     hidden_remainder_x
      - .offset:         60
        .size:           2
        .value_kind:     hidden_remainder_y
      - .offset:         62
        .size:           2
        .value_kind:     hidden_remainder_z
      - .offset:         80
        .size:           8
        .value_kind:     hidden_global_offset_x
      - .offset:         88
        .size:           8
        .value_kind:     hidden_global_offset_y
      - .offset:         96
        .size:           8
        .value_kind:     hidden_global_offset_z
      - .offset:         104
        .size:           2
        .value_kind:     hidden_grid_dims
      - .offset:         120
        .size:           8
        .value_kind:     hidden_hostcall_buffer
    .group_segment_fixed_size: 0
    .kernarg_segment_align: 8
    .kernarg_segment_size: 296
    .language:       OpenCL C
    .language_version:
      - 2
      - 0
    .max_flat_workgroup_size: 1024
    .name:           _Z16wvSplitK_hf_sml_I6__halfLi64ELi2ELi16ELi8ELi2ELi2EEviiPKT_S3_PS1_ii
    .private_segment_fixed_size: 64
    .sgpr_count:     36
    .sgpr_spill_count: 0
    .symbol:         _Z16wvSplitK_hf_sml_I6__halfLi64ELi2ELi16ELi8ELi2ELi2EEviiPKT_S3_PS1_ii.kd
    .uniform_work_group_size: 1
    .uses_dynamic_stack: false
    .vgpr_count:     50
    .vgpr_spill_count: 0
    .wavefront_size: 32
    .workgroup_processor_mode: 1
  - .args:
      - .offset:         0
        .size:           4
        .value_kind:     by_value
      - .offset:         4
        .size:           4
        .value_kind:     by_value
      - .address_space:  global
        .offset:         8
        .size:           8
        .value_kind:     global_buffer
      - .actual_access:  read_only
        .address_space:  global
        .offset:         16
        .size:           8
        .value_kind:     global_buffer
      - .address_space:  global
        .offset:         24
        .size:           8
        .value_kind:     global_buffer
      - .offset:         32
        .size:           4
        .value_kind:     by_value
      - .offset:         36
        .size:           4
        .value_kind:     by_value
      - .offset:         40
        .size:           4
        .value_kind:     hidden_block_count_x
      - .offset:         44
        .size:           4
        .value_kind:     hidden_block_count_y
      - .offset:         48
        .size:           4
        .value_kind:     hidden_block_count_z
      - .offset:         52
        .size:           2
        .value_kind:     hidden_group_size_x
      - .offset:         54
        .size:           2
        .value_kind:     hidden_group_size_y
      - .offset:         56
        .size:           2
        .value_kind:     hidden_group_size_z
      - .offset:         58
        .size:           2
        .value_kind:     hidden_remainder_x
      - .offset:         60
        .size:           2
        .value_kind:     hidden_remainder_y
      - .offset:         62
        .size:           2
        .value_kind:     hidden_remainder_z
      - .offset:         80
        .size:           8
        .value_kind:     hidden_global_offset_x
      - .offset:         88
        .size:           8
        .value_kind:     hidden_global_offset_y
      - .offset:         96
        .size:           8
        .value_kind:     hidden_global_offset_z
      - .offset:         104
        .size:           2
        .value_kind:     hidden_grid_dims
      - .offset:         120
        .size:           8
        .value_kind:     hidden_hostcall_buffer
    .group_segment_fixed_size: 0
    .kernarg_segment_align: 8
    .kernarg_segment_size: 296
    .language:       OpenCL C
    .language_version:
      - 2
      - 0
    .max_flat_workgroup_size: 1024
    .name:           _Z12wvSplitK_hf_I6__halfLi64ELi2ELi16ELi8ELi2ELi2EEviiPKT_S3_PS1_ii
    .private_segment_fixed_size: 64
    .sgpr_count:     36
    .sgpr_spill_count: 0
    .symbol:         _Z12wvSplitK_hf_I6__halfLi64ELi2ELi16ELi8ELi2ELi2EEviiPKT_S3_PS1_ii.kd
    .uniform_work_group_size: 1
    .uses_dynamic_stack: false
    .vgpr_count:     50
    .vgpr_spill_count: 0
    .wavefront_size: 32
    .workgroup_processor_mode: 1
  - .args:
      - .offset:         0
        .size:           4
        .value_kind:     by_value
      - .offset:         4
        .size:           4
        .value_kind:     by_value
      - .address_space:  global
        .offset:         8
        .size:           8
        .value_kind:     global_buffer
      - .actual_access:  read_only
        .address_space:  global
        .offset:         16
        .size:           8
        .value_kind:     global_buffer
      - .address_space:  global
        .offset:         24
        .size:           8
        .value_kind:     global_buffer
      - .offset:         32
        .size:           4
        .value_kind:     by_value
      - .offset:         36
        .size:           4
        .value_kind:     by_value
      - .offset:         40
        .size:           4
        .value_kind:     hidden_block_count_x
      - .offset:         44
        .size:           4
        .value_kind:     hidden_block_count_y
      - .offset:         48
        .size:           4
        .value_kind:     hidden_block_count_z
      - .offset:         52
        .size:           2
        .value_kind:     hidden_group_size_x
      - .offset:         54
        .size:           2
        .value_kind:     hidden_group_size_y
      - .offset:         56
        .size:           2
        .value_kind:     hidden_group_size_z
      - .offset:         58
        .size:           2
        .value_kind:     hidden_remainder_x
      - .offset:         60
        .size:           2
        .value_kind:     hidden_remainder_y
      - .offset:         62
        .size:           2
        .value_kind:     hidden_remainder_z
      - .offset:         80
        .size:           8
        .value_kind:     hidden_global_offset_x
      - .offset:         88
        .size:           8
        .value_kind:     hidden_global_offset_y
      - .offset:         96
        .size:           8
        .value_kind:     hidden_global_offset_z
      - .offset:         104
        .size:           2
        .value_kind:     hidden_grid_dims
      - .offset:         120
        .size:           8
        .value_kind:     hidden_hostcall_buffer
    .group_segment_fixed_size: 0
    .kernarg_segment_align: 8
    .kernarg_segment_size: 296
    .language:       OpenCL C
    .language_version:
      - 2
      - 0
    .max_flat_workgroup_size: 1024
    .name:           _Z16wvSplitK_hf_big_I6__halfLi64ELi2ELi16ELi8ELi2ELi2EEviiPKT_S3_PS1_ii
    .private_segment_fixed_size: 64
    .sgpr_count:     36
    .sgpr_spill_count: 0
    .symbol:         _Z16wvSplitK_hf_big_I6__halfLi64ELi2ELi16ELi8ELi2ELi2EEviiPKT_S3_PS1_ii.kd
    .uniform_work_group_size: 1
    .uses_dynamic_stack: false
    .vgpr_count:     50
    .vgpr_spill_count: 0
    .wavefront_size: 32
    .workgroup_processor_mode: 1
  - .args:
      - .offset:         0
        .size:           4
        .value_kind:     by_value
      - .offset:         4
        .size:           4
        .value_kind:     by_value
      - .address_space:  global
        .offset:         8
        .size:           8
        .value_kind:     global_buffer
      - .actual_access:  read_only
        .address_space:  global
        .offset:         16
        .size:           8
        .value_kind:     global_buffer
      - .address_space:  global
        .offset:         24
        .size:           8
        .value_kind:     global_buffer
      - .offset:         32
        .size:           4
        .value_kind:     by_value
      - .offset:         36
        .size:           4
        .value_kind:     by_value
      - .offset:         40
        .size:           4
        .value_kind:     hidden_block_count_x
      - .offset:         44
        .size:           4
        .value_kind:     hidden_block_count_y
      - .offset:         48
        .size:           4
        .value_kind:     hidden_block_count_z
      - .offset:         52
        .size:           2
        .value_kind:     hidden_group_size_x
      - .offset:         54
        .size:           2
        .value_kind:     hidden_group_size_y
      - .offset:         56
        .size:           2
        .value_kind:     hidden_group_size_z
      - .offset:         58
        .size:           2
        .value_kind:     hidden_remainder_x
      - .offset:         60
        .size:           2
        .value_kind:     hidden_remainder_y
      - .offset:         62
        .size:           2
        .value_kind:     hidden_remainder_z
      - .offset:         80
        .size:           8
        .value_kind:     hidden_global_offset_x
      - .offset:         88
        .size:           8
        .value_kind:     hidden_global_offset_y
      - .offset:         96
        .size:           8
        .value_kind:     hidden_global_offset_z
      - .offset:         104
        .size:           2
        .value_kind:     hidden_grid_dims
      - .offset:         120
        .size:           8
        .value_kind:     hidden_hostcall_buffer
    .group_segment_fixed_size: 0
    .kernarg_segment_align: 8
    .kernarg_segment_size: 296
    .language:       OpenCL C
    .language_version:
      - 2
      - 0
    .max_flat_workgroup_size: 1024
    .name:           _Z16wvSplitK_hf_sml_I6__halfLi64ELi4ELi16ELi8ELi1ELi3EEviiPKT_S3_PS1_ii
    .private_segment_fixed_size: 64
    .sgpr_count:     36
    .sgpr_spill_count: 0
    .symbol:         _Z16wvSplitK_hf_sml_I6__halfLi64ELi4ELi16ELi8ELi1ELi3EEviiPKT_S3_PS1_ii.kd
    .uniform_work_group_size: 1
    .uses_dynamic_stack: false
    .vgpr_count:     50
    .vgpr_spill_count: 0
    .wavefront_size: 32
    .workgroup_processor_mode: 1
  - .args:
      - .offset:         0
        .size:           4
        .value_kind:     by_value
      - .offset:         4
        .size:           4
        .value_kind:     by_value
      - .address_space:  global
        .offset:         8
        .size:           8
        .value_kind:     global_buffer
      - .actual_access:  read_only
        .address_space:  global
        .offset:         16
        .size:           8
        .value_kind:     global_buffer
      - .address_space:  global
        .offset:         24
        .size:           8
        .value_kind:     global_buffer
      - .offset:         32
        .size:           4
        .value_kind:     by_value
      - .offset:         36
        .size:           4
        .value_kind:     by_value
      - .offset:         40
        .size:           4
        .value_kind:     hidden_block_count_x
      - .offset:         44
        .size:           4
        .value_kind:     hidden_block_count_y
      - .offset:         48
        .size:           4
        .value_kind:     hidden_block_count_z
      - .offset:         52
        .size:           2
        .value_kind:     hidden_group_size_x
      - .offset:         54
        .size:           2
        .value_kind:     hidden_group_size_y
      - .offset:         56
        .size:           2
        .value_kind:     hidden_group_size_z
      - .offset:         58
        .size:           2
        .value_kind:     hidden_remainder_x
      - .offset:         60
        .size:           2
        .value_kind:     hidden_remainder_y
      - .offset:         62
        .size:           2
        .value_kind:     hidden_remainder_z
      - .offset:         80
        .size:           8
        .value_kind:     hidden_global_offset_x
      - .offset:         88
        .size:           8
        .value_kind:     hidden_global_offset_y
      - .offset:         96
        .size:           8
        .value_kind:     hidden_global_offset_z
      - .offset:         104
        .size:           2
        .value_kind:     hidden_grid_dims
      - .offset:         120
        .size:           8
        .value_kind:     hidden_hostcall_buffer
    .group_segment_fixed_size: 0
    .kernarg_segment_align: 8
    .kernarg_segment_size: 296
    .language:       OpenCL C
    .language_version:
      - 2
      - 0
    .max_flat_workgroup_size: 1024
    .name:           _Z12wvSplitK_hf_I6__halfLi64ELi7ELi16ELi8ELi1ELi3EEviiPKT_S3_PS1_ii
    .private_segment_fixed_size: 64
    .sgpr_count:     36
    .sgpr_spill_count: 0
    .symbol:         _Z12wvSplitK_hf_I6__halfLi64ELi7ELi16ELi8ELi1ELi3EEviiPKT_S3_PS1_ii.kd
    .uniform_work_group_size: 1
    .uses_dynamic_stack: false
    .vgpr_count:     50
    .vgpr_spill_count: 0
    .wavefront_size: 32
    .workgroup_processor_mode: 1
  - .args:
      - .offset:         0
        .size:           4
        .value_kind:     by_value
      - .offset:         4
        .size:           4
        .value_kind:     by_value
      - .address_space:  global
        .offset:         8
        .size:           8
        .value_kind:     global_buffer
      - .actual_access:  read_only
        .address_space:  global
        .offset:         16
        .size:           8
        .value_kind:     global_buffer
      - .address_space:  global
        .offset:         24
        .size:           8
        .value_kind:     global_buffer
      - .offset:         32
        .size:           4
        .value_kind:     by_value
      - .offset:         36
        .size:           4
        .value_kind:     by_value
      - .offset:         40
        .size:           4
        .value_kind:     hidden_block_count_x
      - .offset:         44
        .size:           4
        .value_kind:     hidden_block_count_y
      - .offset:         48
        .size:           4
        .value_kind:     hidden_block_count_z
      - .offset:         52
        .size:           2
        .value_kind:     hidden_group_size_x
      - .offset:         54
        .size:           2
        .value_kind:     hidden_group_size_y
      - .offset:         56
        .size:           2
        .value_kind:     hidden_group_size_z
      - .offset:         58
        .size:           2
        .value_kind:     hidden_remainder_x
      - .offset:         60
        .size:           2
        .value_kind:     hidden_remainder_y
      - .offset:         62
        .size:           2
        .value_kind:     hidden_remainder_z
      - .offset:         80
        .size:           8
        .value_kind:     hidden_global_offset_x
      - .offset:         88
        .size:           8
        .value_kind:     hidden_global_offset_y
      - .offset:         96
        .size:           8
        .value_kind:     hidden_global_offset_z
      - .offset:         104
        .size:           2
        .value_kind:     hidden_grid_dims
      - .offset:         120
        .size:           8
        .value_kind:     hidden_hostcall_buffer
    .group_segment_fixed_size: 0
    .kernarg_segment_align: 8
    .kernarg_segment_size: 296
    .language:       OpenCL C
    .language_version:
      - 2
      - 0
    .max_flat_workgroup_size: 1024
    .name:           _Z16wvSplitK_hf_big_I6__halfLi64ELi7ELi16ELi8ELi1ELi3EEviiPKT_S3_PS1_ii
    .private_segment_fixed_size: 64
    .sgpr_count:     36
    .sgpr_spill_count: 0
    .symbol:         _Z16wvSplitK_hf_big_I6__halfLi64ELi7ELi16ELi8ELi1ELi3EEviiPKT_S3_PS1_ii.kd
    .uniform_work_group_size: 1
    .uses_dynamic_stack: false
    .vgpr_count:     50
    .vgpr_spill_count: 0
    .wavefront_size: 32
    .workgroup_processor_mode: 1
  - .args:
      - .offset:         0
        .size:           4
        .value_kind:     by_value
      - .offset:         4
        .size:           4
        .value_kind:     by_value
      - .address_space:  global
        .offset:         8
        .size:           8
        .value_kind:     global_buffer
      - .actual_access:  read_only
        .address_space:  global
        .offset:         16
        .size:           8
        .value_kind:     global_buffer
      - .address_space:  global
        .offset:         24
        .size:           8
        .value_kind:     global_buffer
      - .offset:         32
        .size:           4
        .value_kind:     by_value
      - .offset:         36
        .size:           4
        .value_kind:     by_value
      - .offset:         40
        .size:           4
        .value_kind:     hidden_block_count_x
      - .offset:         44
        .size:           4
        .value_kind:     hidden_block_count_y
      - .offset:         48
        .size:           4
        .value_kind:     hidden_block_count_z
      - .offset:         52
        .size:           2
        .value_kind:     hidden_group_size_x
      - .offset:         54
        .size:           2
        .value_kind:     hidden_group_size_y
      - .offset:         56
        .size:           2
        .value_kind:     hidden_group_size_z
      - .offset:         58
        .size:           2
        .value_kind:     hidden_remainder_x
      - .offset:         60
        .size:           2
        .value_kind:     hidden_remainder_y
      - .offset:         62
        .size:           2
        .value_kind:     hidden_remainder_z
      - .offset:         80
        .size:           8
        .value_kind:     hidden_global_offset_x
      - .offset:         88
        .size:           8
        .value_kind:     hidden_global_offset_y
      - .offset:         96
        .size:           8
        .value_kind:     hidden_global_offset_z
      - .offset:         104
        .size:           2
        .value_kind:     hidden_grid_dims
      - .offset:         120
        .size:           8
        .value_kind:     hidden_hostcall_buffer
    .group_segment_fixed_size: 0
    .kernarg_segment_align: 8
    .kernarg_segment_size: 296
    .language:       OpenCL C
    .language_version:
      - 2
      - 0
    .max_flat_workgroup_size: 1024
    .name:           _Z16wvSplitK_hf_sml_I6__halfLi64ELi4ELi16ELi8ELi1ELi4EEviiPKT_S3_PS1_ii
    .private_segment_fixed_size: 64
    .sgpr_count:     36
    .sgpr_spill_count: 0
    .symbol:         _Z16wvSplitK_hf_sml_I6__halfLi64ELi4ELi16ELi8ELi1ELi4EEviiPKT_S3_PS1_ii.kd
    .uniform_work_group_size: 1
    .uses_dynamic_stack: false
    .vgpr_count:     50
    .vgpr_spill_count: 0
    .wavefront_size: 32
    .workgroup_processor_mode: 1
  - .args:
      - .offset:         0
        .size:           4
        .value_kind:     by_value
      - .offset:         4
        .size:           4
        .value_kind:     by_value
      - .address_space:  global
        .offset:         8
        .size:           8
        .value_kind:     global_buffer
      - .actual_access:  read_only
        .address_space:  global
        .offset:         16
        .size:           8
        .value_kind:     global_buffer
      - .address_space:  global
        .offset:         24
        .size:           8
        .value_kind:     global_buffer
      - .offset:         32
        .size:           4
        .value_kind:     by_value
      - .offset:         36
        .size:           4
        .value_kind:     by_value
      - .offset:         40
        .size:           4
        .value_kind:     hidden_block_count_x
      - .offset:         44
        .size:           4
        .value_kind:     hidden_block_count_y
      - .offset:         48
        .size:           4
        .value_kind:     hidden_block_count_z
      - .offset:         52
        .size:           2
        .value_kind:     hidden_group_size_x
      - .offset:         54
        .size:           2
        .value_kind:     hidden_group_size_y
      - .offset:         56
        .size:           2
        .value_kind:     hidden_group_size_z
      - .offset:         58
        .size:           2
        .value_kind:     hidden_remainder_x
      - .offset:         60
        .size:           2
        .value_kind:     hidden_remainder_y
      - .offset:         62
        .size:           2
        .value_kind:     hidden_remainder_z
      - .offset:         80
        .size:           8
        .value_kind:     hidden_global_offset_x
      - .offset:         88
        .size:           8
        .value_kind:     hidden_global_offset_y
      - .offset:         96
        .size:           8
        .value_kind:     hidden_global_offset_z
      - .offset:         104
        .size:           2
        .value_kind:     hidden_grid_dims
      - .offset:         120
        .size:           8
        .value_kind:     hidden_hostcall_buffer
    .group_segment_fixed_size: 0
    .kernarg_segment_align: 8
    .kernarg_segment_size: 296
    .language:       OpenCL C
    .language_version:
      - 2
      - 0
    .max_flat_workgroup_size: 1024
    .name:           _Z12wvSplitK_hf_I6__halfLi64ELi7ELi16ELi8ELi1ELi4EEviiPKT_S3_PS1_ii
    .private_segment_fixed_size: 64
    .sgpr_count:     36
    .sgpr_spill_count: 0
    .symbol:         _Z12wvSplitK_hf_I6__halfLi64ELi7ELi16ELi8ELi1ELi4EEviiPKT_S3_PS1_ii.kd
    .uniform_work_group_size: 1
    .uses_dynamic_stack: false
    .vgpr_count:     50
    .vgpr_spill_count: 0
    .wavefront_size: 32
    .workgroup_processor_mode: 1
  - .args:
      - .offset:         0
        .size:           4
        .value_kind:     by_value
      - .offset:         4
        .size:           4
        .value_kind:     by_value
      - .address_space:  global
        .offset:         8
        .size:           8
        .value_kind:     global_buffer
      - .actual_access:  read_only
        .address_space:  global
        .offset:         16
        .size:           8
        .value_kind:     global_buffer
      - .address_space:  global
        .offset:         24
        .size:           8
        .value_kind:     global_buffer
      - .offset:         32
        .size:           4
        .value_kind:     by_value
      - .offset:         36
        .size:           4
        .value_kind:     by_value
      - .offset:         40
        .size:           4
        .value_kind:     hidden_block_count_x
      - .offset:         44
        .size:           4
        .value_kind:     hidden_block_count_y
      - .offset:         48
        .size:           4
        .value_kind:     hidden_block_count_z
      - .offset:         52
        .size:           2
        .value_kind:     hidden_group_size_x
      - .offset:         54
        .size:           2
        .value_kind:     hidden_group_size_y
      - .offset:         56
        .size:           2
        .value_kind:     hidden_group_size_z
      - .offset:         58
        .size:           2
        .value_kind:     hidden_remainder_x
      - .offset:         60
        .size:           2
        .value_kind:     hidden_remainder_y
      - .offset:         62
        .size:           2
        .value_kind:     hidden_remainder_z
      - .offset:         80
        .size:           8
        .value_kind:     hidden_global_offset_x
      - .offset:         88
        .size:           8
        .value_kind:     hidden_global_offset_y
      - .offset:         96
        .size:           8
        .value_kind:     hidden_global_offset_z
      - .offset:         104
        .size:           2
        .value_kind:     hidden_grid_dims
      - .offset:         120
        .size:           8
        .value_kind:     hidden_hostcall_buffer
    .group_segment_fixed_size: 0
    .kernarg_segment_align: 8
    .kernarg_segment_size: 296
    .language:       OpenCL C
    .language_version:
      - 2
      - 0
    .max_flat_workgroup_size: 1024
    .name:           _Z16wvSplitK_hf_big_I6__halfLi64ELi7ELi16ELi8ELi1ELi4EEviiPKT_S3_PS1_ii
    .private_segment_fixed_size: 64
    .sgpr_count:     36
    .sgpr_spill_count: 0
    .symbol:         _Z16wvSplitK_hf_big_I6__halfLi64ELi7ELi16ELi8ELi1ELi4EEviiPKT_S3_PS1_ii.kd
    .uniform_work_group_size: 1
    .uses_dynamic_stack: false
    .vgpr_count:     50
    .vgpr_spill_count: 0
    .wavefront_size: 32
    .workgroup_processor_mode: 1
  - .args:
      - .offset:         0
        .size:           4
        .value_kind:     by_value
      - .offset:         4
        .size:           4
        .value_kind:     by_value
      - .address_space:  global
        .offset:         8
        .size:           8
        .value_kind:     global_buffer
      - .actual_access:  read_only
        .address_space:  global
        .offset:         16
        .size:           8
        .value_kind:     global_buffer
      - .address_space:  global
        .offset:         24
        .size:           8
        .value_kind:     global_buffer
      - .offset:         32
        .size:           4
        .value_kind:     by_value
      - .offset:         36
        .size:           4
        .value_kind:     by_value
      - .offset:         40
        .size:           4
        .value_kind:     hidden_block_count_x
      - .offset:         44
        .size:           4
        .value_kind:     hidden_block_count_y
      - .offset:         48
        .size:           4
        .value_kind:     hidden_block_count_z
      - .offset:         52
        .size:           2
        .value_kind:     hidden_group_size_x
      - .offset:         54
        .size:           2
        .value_kind:     hidden_group_size_y
      - .offset:         56
        .size:           2
        .value_kind:     hidden_group_size_z
      - .offset:         58
        .size:           2
        .value_kind:     hidden_remainder_x
      - .offset:         60
        .size:           2
        .value_kind:     hidden_remainder_y
      - .offset:         62
        .size:           2
        .value_kind:     hidden_remainder_z
      - .offset:         80
        .size:           8
        .value_kind:     hidden_global_offset_x
      - .offset:         88
        .size:           8
        .value_kind:     hidden_global_offset_y
      - .offset:         96
        .size:           8
        .value_kind:     hidden_global_offset_z
      - .offset:         104
        .size:           2
        .value_kind:     hidden_grid_dims
      - .offset:         120
        .size:           8
        .value_kind:     hidden_hostcall_buffer
    .group_segment_fixed_size: 0
    .kernarg_segment_align: 8
    .kernarg_segment_size: 296
    .language:       OpenCL C
    .language_version:
      - 2
      - 0
    .max_flat_workgroup_size: 1024
    .name:           _Z16wvSplitK_hf_sml_I14__hip_bfloat16Li64ELi2ELi16ELi8ELi2ELi1EEviiPKT_S3_PS1_ii
    .private_segment_fixed_size: 64
    .sgpr_count:     36
    .sgpr_spill_count: 0
    .symbol:         _Z16wvSplitK_hf_sml_I14__hip_bfloat16Li64ELi2ELi16ELi8ELi2ELi1EEviiPKT_S3_PS1_ii.kd
    .uniform_work_group_size: 1
    .uses_dynamic_stack: false
    .vgpr_count:     50
    .vgpr_spill_count: 0
    .wavefront_size: 32
    .workgroup_processor_mode: 1
  - .args:
      - .offset:         0
        .size:           4
        .value_kind:     by_value
      - .offset:         4
        .size:           4
        .value_kind:     by_value
      - .address_space:  global
        .offset:         8
        .size:           8
        .value_kind:     global_buffer
      - .actual_access:  read_only
        .address_space:  global
        .offset:         16
        .size:           8
        .value_kind:     global_buffer
      - .address_space:  global
        .offset:         24
        .size:           8
        .value_kind:     global_buffer
      - .offset:         32
        .size:           4
        .value_kind:     by_value
      - .offset:         36
        .size:           4
        .value_kind:     by_value
      - .offset:         40
        .size:           4
        .value_kind:     hidden_block_count_x
      - .offset:         44
        .size:           4
        .value_kind:     hidden_block_count_y
      - .offset:         48
        .size:           4
        .value_kind:     hidden_block_count_z
      - .offset:         52
        .size:           2
        .value_kind:     hidden_group_size_x
      - .offset:         54
        .size:           2
        .value_kind:     hidden_group_size_y
      - .offset:         56
        .size:           2
        .value_kind:     hidden_group_size_z
      - .offset:         58
        .size:           2
        .value_kind:     hidden_remainder_x
      - .offset:         60
        .size:           2
        .value_kind:     hidden_remainder_y
      - .offset:         62
        .size:           2
        .value_kind:     hidden_remainder_z
      - .offset:         80
        .size:           8
        .value_kind:     hidden_global_offset_x
      - .offset:         88
        .size:           8
        .value_kind:     hidden_global_offset_y
      - .offset:         96
        .size:           8
        .value_kind:     hidden_global_offset_z
      - .offset:         104
        .size:           2
        .value_kind:     hidden_grid_dims
      - .offset:         120
        .size:           8
        .value_kind:     hidden_hostcall_buffer
    .group_segment_fixed_size: 0
    .kernarg_segment_align: 8
    .kernarg_segment_size: 296
    .language:       OpenCL C
    .language_version:
      - 2
      - 0
    .max_flat_workgroup_size: 1024
    .name:           _Z12wvSplitK_hf_I14__hip_bfloat16Li64ELi2ELi16ELi8ELi2ELi1EEviiPKT_S3_PS1_ii
    .private_segment_fixed_size: 64
    .sgpr_count:     36
    .sgpr_spill_count: 0
    .symbol:         _Z12wvSplitK_hf_I14__hip_bfloat16Li64ELi2ELi16ELi8ELi2ELi1EEviiPKT_S3_PS1_ii.kd
    .uniform_work_group_size: 1
    .uses_dynamic_stack: false
    .vgpr_count:     50
    .vgpr_spill_count: 0
    .wavefront_size: 32
    .workgroup_processor_mode: 1
  - .args:
      - .offset:         0
        .size:           4
        .value_kind:     by_value
      - .offset:         4
        .size:           4
        .value_kind:     by_value
      - .address_space:  global
        .offset:         8
        .size:           8
        .value_kind:     global_buffer
      - .actual_access:  read_only
        .address_space:  global
        .offset:         16
        .size:           8
        .value_kind:     global_buffer
      - .address_space:  global
        .offset:         24
        .size:           8
        .value_kind:     global_buffer
      - .offset:         32
        .size:           4
        .value_kind:     by_value
      - .offset:         36
        .size:           4
        .value_kind:     by_value
      - .offset:         40
        .size:           4
        .value_kind:     hidden_block_count_x
      - .offset:         44
        .size:           4
        .value_kind:     hidden_block_count_y
      - .offset:         48
        .size:           4
        .value_kind:     hidden_block_count_z
      - .offset:         52
        .size:           2
        .value_kind:     hidden_group_size_x
      - .offset:         54
        .size:           2
        .value_kind:     hidden_group_size_y
      - .offset:         56
        .size:           2
        .value_kind:     hidden_group_size_z
      - .offset:         58
        .size:           2
        .value_kind:     hidden_remainder_x
      - .offset:         60
        .size:           2
        .value_kind:     hidden_remainder_y
      - .offset:         62
        .size:           2
        .value_kind:     hidden_remainder_z
      - .offset:         80
        .size:           8
        .value_kind:     hidden_global_offset_x
      - .offset:         88
        .size:           8
        .value_kind:     hidden_global_offset_y
      - .offset:         96
        .size:           8
        .value_kind:     hidden_global_offset_z
      - .offset:         104
        .size:           2
        .value_kind:     hidden_grid_dims
      - .offset:         120
        .size:           8
        .value_kind:     hidden_hostcall_buffer
    .group_segment_fixed_size: 0
    .kernarg_segment_align: 8
    .kernarg_segment_size: 296
    .language:       OpenCL C
    .language_version:
      - 2
      - 0
    .max_flat_workgroup_size: 1024
    .name:           _Z16wvSplitK_hf_big_I14__hip_bfloat16Li64ELi2ELi16ELi8ELi2ELi1EEviiPKT_S3_PS1_ii
    .private_segment_fixed_size: 64
    .sgpr_count:     36
    .sgpr_spill_count: 0
    .symbol:         _Z16wvSplitK_hf_big_I14__hip_bfloat16Li64ELi2ELi16ELi8ELi2ELi1EEviiPKT_S3_PS1_ii.kd
    .uniform_work_group_size: 1
    .uses_dynamic_stack: false
    .vgpr_count:     50
    .vgpr_spill_count: 0
    .wavefront_size: 32
    .workgroup_processor_mode: 1
  - .args:
      - .offset:         0
        .size:           4
        .value_kind:     by_value
      - .offset:         4
        .size:           4
        .value_kind:     by_value
      - .address_space:  global
        .offset:         8
        .size:           8
        .value_kind:     global_buffer
      - .actual_access:  read_only
        .address_space:  global
        .offset:         16
        .size:           8
        .value_kind:     global_buffer
      - .address_space:  global
        .offset:         24
        .size:           8
        .value_kind:     global_buffer
      - .offset:         32
        .size:           4
        .value_kind:     by_value
      - .offset:         36
        .size:           4
        .value_kind:     by_value
      - .offset:         40
        .size:           4
        .value_kind:     hidden_block_count_x
      - .offset:         44
        .size:           4
        .value_kind:     hidden_block_count_y
      - .offset:         48
        .size:           4
        .value_kind:     hidden_block_count_z
      - .offset:         52
        .size:           2
        .value_kind:     hidden_group_size_x
      - .offset:         54
        .size:           2
        .value_kind:     hidden_group_size_y
      - .offset:         56
        .size:           2
        .value_kind:     hidden_group_size_z
      - .offset:         58
        .size:           2
        .value_kind:     hidden_remainder_x
      - .offset:         60
        .size:           2
        .value_kind:     hidden_remainder_y
      - .offset:         62
        .size:           2
        .value_kind:     hidden_remainder_z
      - .offset:         80
        .size:           8
        .value_kind:     hidden_global_offset_x
      - .offset:         88
        .size:           8
        .value_kind:     hidden_global_offset_y
      - .offset:         96
        .size:           8
        .value_kind:     hidden_global_offset_z
      - .offset:         104
        .size:           2
        .value_kind:     hidden_grid_dims
      - .offset:         120
        .size:           8
        .value_kind:     hidden_hostcall_buffer
    .group_segment_fixed_size: 0
    .kernarg_segment_align: 8
    .kernarg_segment_size: 296
    .language:       OpenCL C
    .language_version:
      - 2
      - 0
    .max_flat_workgroup_size: 1024
    .name:           _Z16wvSplitK_hf_sml_I14__hip_bfloat16Li64ELi2ELi16ELi8ELi2ELi2EEviiPKT_S3_PS1_ii
    .private_segment_fixed_size: 64
    .sgpr_count:     36
    .sgpr_spill_count: 0
    .symbol:         _Z16wvSplitK_hf_sml_I14__hip_bfloat16Li64ELi2ELi16ELi8ELi2ELi2EEviiPKT_S3_PS1_ii.kd
    .uniform_work_group_size: 1
    .uses_dynamic_stack: false
    .vgpr_count:     50
    .vgpr_spill_count: 0
    .wavefront_size: 32
    .workgroup_processor_mode: 1
  - .args:
      - .offset:         0
        .size:           4
        .value_kind:     by_value
      - .offset:         4
        .size:           4
        .value_kind:     by_value
      - .address_space:  global
        .offset:         8
        .size:           8
        .value_kind:     global_buffer
      - .actual_access:  read_only
        .address_space:  global
        .offset:         16
        .size:           8
        .value_kind:     global_buffer
      - .address_space:  global
        .offset:         24
        .size:           8
        .value_kind:     global_buffer
      - .offset:         32
        .size:           4
        .value_kind:     by_value
      - .offset:         36
        .size:           4
        .value_kind:     by_value
      - .offset:         40
        .size:           4
        .value_kind:     hidden_block_count_x
      - .offset:         44
        .size:           4
        .value_kind:     hidden_block_count_y
      - .offset:         48
        .size:           4
        .value_kind:     hidden_block_count_z
      - .offset:         52
        .size:           2
        .value_kind:     hidden_group_size_x
      - .offset:         54
        .size:           2
        .value_kind:     hidden_group_size_y
      - .offset:         56
        .size:           2
        .value_kind:     hidden_group_size_z
      - .offset:         58
        .size:           2
        .value_kind:     hidden_remainder_x
      - .offset:         60
        .size:           2
        .value_kind:     hidden_remainder_y
      - .offset:         62
        .size:           2
        .value_kind:     hidden_remainder_z
      - .offset:         80
        .size:           8
        .value_kind:     hidden_global_offset_x
      - .offset:         88
        .size:           8
        .value_kind:     hidden_global_offset_y
      - .offset:         96
        .size:           8
        .value_kind:     hidden_global_offset_z
      - .offset:         104
        .size:           2
        .value_kind:     hidden_grid_dims
      - .offset:         120
        .size:           8
        .value_kind:     hidden_hostcall_buffer
    .group_segment_fixed_size: 0
    .kernarg_segment_align: 8
    .kernarg_segment_size: 296
    .language:       OpenCL C
    .language_version:
      - 2
      - 0
    .max_flat_workgroup_size: 1024
    .name:           _Z12wvSplitK_hf_I14__hip_bfloat16Li64ELi2ELi16ELi8ELi2ELi2EEviiPKT_S3_PS1_ii
    .private_segment_fixed_size: 64
    .sgpr_count:     36
    .sgpr_spill_count: 0
    .symbol:         _Z12wvSplitK_hf_I14__hip_bfloat16Li64ELi2ELi16ELi8ELi2ELi2EEviiPKT_S3_PS1_ii.kd
    .uniform_work_group_size: 1
    .uses_dynamic_stack: false
    .vgpr_count:     50
    .vgpr_spill_count: 0
    .wavefront_size: 32
    .workgroup_processor_mode: 1
  - .args:
      - .offset:         0
        .size:           4
        .value_kind:     by_value
      - .offset:         4
        .size:           4
        .value_kind:     by_value
      - .address_space:  global
        .offset:         8
        .size:           8
        .value_kind:     global_buffer
      - .actual_access:  read_only
        .address_space:  global
        .offset:         16
        .size:           8
        .value_kind:     global_buffer
      - .address_space:  global
        .offset:         24
        .size:           8
        .value_kind:     global_buffer
      - .offset:         32
        .size:           4
        .value_kind:     by_value
      - .offset:         36
        .size:           4
        .value_kind:     by_value
      - .offset:         40
        .size:           4
        .value_kind:     hidden_block_count_x
      - .offset:         44
        .size:           4
        .value_kind:     hidden_block_count_y
      - .offset:         48
        .size:           4
        .value_kind:     hidden_block_count_z
      - .offset:         52
        .size:           2
        .value_kind:     hidden_group_size_x
      - .offset:         54
        .size:           2
        .value_kind:     hidden_group_size_y
      - .offset:         56
        .size:           2
        .value_kind:     hidden_group_size_z
      - .offset:         58
        .size:           2
        .value_kind:     hidden_remainder_x
      - .offset:         60
        .size:           2
        .value_kind:     hidden_remainder_y
      - .offset:         62
        .size:           2
        .value_kind:     hidden_remainder_z
      - .offset:         80
        .size:           8
        .value_kind:     hidden_global_offset_x
      - .offset:         88
        .size:           8
        .value_kind:     hidden_global_offset_y
      - .offset:         96
        .size:           8
        .value_kind:     hidden_global_offset_z
      - .offset:         104
        .size:           2
        .value_kind:     hidden_grid_dims
      - .offset:         120
        .size:           8
        .value_kind:     hidden_hostcall_buffer
    .group_segment_fixed_size: 0
    .kernarg_segment_align: 8
    .kernarg_segment_size: 296
    .language:       OpenCL C
    .language_version:
      - 2
      - 0
    .max_flat_workgroup_size: 1024
    .name:           _Z16wvSplitK_hf_big_I14__hip_bfloat16Li64ELi2ELi16ELi8ELi2ELi2EEviiPKT_S3_PS1_ii
    .private_segment_fixed_size: 64
    .sgpr_count:     36
    .sgpr_spill_count: 0
    .symbol:         _Z16wvSplitK_hf_big_I14__hip_bfloat16Li64ELi2ELi16ELi8ELi2ELi2EEviiPKT_S3_PS1_ii.kd
    .uniform_work_group_size: 1
    .uses_dynamic_stack: false
    .vgpr_count:     50
    .vgpr_spill_count: 0
    .wavefront_size: 32
    .workgroup_processor_mode: 1
  - .args:
      - .offset:         0
        .size:           4
        .value_kind:     by_value
      - .offset:         4
        .size:           4
        .value_kind:     by_value
      - .address_space:  global
        .offset:         8
        .size:           8
        .value_kind:     global_buffer
      - .actual_access:  read_only
        .address_space:  global
        .offset:         16
        .size:           8
        .value_kind:     global_buffer
      - .address_space:  global
        .offset:         24
        .size:           8
        .value_kind:     global_buffer
      - .offset:         32
        .size:           4
        .value_kind:     by_value
      - .offset:         36
        .size:           4
        .value_kind:     by_value
      - .offset:         40
        .size:           4
        .value_kind:     hidden_block_count_x
      - .offset:         44
        .size:           4
        .value_kind:     hidden_block_count_y
      - .offset:         48
        .size:           4
        .value_kind:     hidden_block_count_z
      - .offset:         52
        .size:           2
        .value_kind:     hidden_group_size_x
      - .offset:         54
        .size:           2
        .value_kind:     hidden_group_size_y
      - .offset:         56
        .size:           2
        .value_kind:     hidden_group_size_z
      - .offset:         58
        .size:           2
        .value_kind:     hidden_remainder_x
      - .offset:         60
        .size:           2
        .value_kind:     hidden_remainder_y
      - .offset:         62
        .size:           2
        .value_kind:     hidden_remainder_z
      - .offset:         80
        .size:           8
        .value_kind:     hidden_global_offset_x
      - .offset:         88
        .size:           8
        .value_kind:     hidden_global_offset_y
      - .offset:         96
        .size:           8
        .value_kind:     hidden_global_offset_z
      - .offset:         104
        .size:           2
        .value_kind:     hidden_grid_dims
      - .offset:         120
        .size:           8
        .value_kind:     hidden_hostcall_buffer
    .group_segment_fixed_size: 0
    .kernarg_segment_align: 8
    .kernarg_segment_size: 296
    .language:       OpenCL C
    .language_version:
      - 2
      - 0
    .max_flat_workgroup_size: 1024
    .name:           _Z16wvSplitK_hf_sml_I14__hip_bfloat16Li64ELi4ELi16ELi8ELi1ELi3EEviiPKT_S3_PS1_ii
    .private_segment_fixed_size: 64
    .sgpr_count:     36
    .sgpr_spill_count: 0
    .symbol:         _Z16wvSplitK_hf_sml_I14__hip_bfloat16Li64ELi4ELi16ELi8ELi1ELi3EEviiPKT_S3_PS1_ii.kd
    .uniform_work_group_size: 1
    .uses_dynamic_stack: false
    .vgpr_count:     50
    .vgpr_spill_count: 0
    .wavefront_size: 32
    .workgroup_processor_mode: 1
  - .args:
      - .offset:         0
        .size:           4
        .value_kind:     by_value
      - .offset:         4
        .size:           4
        .value_kind:     by_value
      - .address_space:  global
        .offset:         8
        .size:           8
        .value_kind:     global_buffer
      - .actual_access:  read_only
        .address_space:  global
        .offset:         16
        .size:           8
        .value_kind:     global_buffer
      - .address_space:  global
        .offset:         24
        .size:           8
        .value_kind:     global_buffer
      - .offset:         32
        .size:           4
        .value_kind:     by_value
      - .offset:         36
        .size:           4
        .value_kind:     by_value
      - .offset:         40
        .size:           4
        .value_kind:     hidden_block_count_x
      - .offset:         44
        .size:           4
        .value_kind:     hidden_block_count_y
      - .offset:         48
        .size:           4
        .value_kind:     hidden_block_count_z
      - .offset:         52
        .size:           2
        .value_kind:     hidden_group_size_x
      - .offset:         54
        .size:           2
        .value_kind:     hidden_group_size_y
      - .offset:         56
        .size:           2
        .value_kind:     hidden_group_size_z
      - .offset:         58
        .size:           2
        .value_kind:     hidden_remainder_x
      - .offset:         60
        .size:           2
        .value_kind:     hidden_remainder_y
      - .offset:         62
        .size:           2
        .value_kind:     hidden_remainder_z
      - .offset:         80
        .size:           8
        .value_kind:     hidden_global_offset_x
      - .offset:         88
        .size:           8
        .value_kind:     hidden_global_offset_y
      - .offset:         96
        .size:           8
        .value_kind:     hidden_global_offset_z
      - .offset:         104
        .size:           2
        .value_kind:     hidden_grid_dims
      - .offset:         120
        .size:           8
        .value_kind:     hidden_hostcall_buffer
    .group_segment_fixed_size: 0
    .kernarg_segment_align: 8
    .kernarg_segment_size: 296
    .language:       OpenCL C
    .language_version:
      - 2
      - 0
    .max_flat_workgroup_size: 1024
    .name:           _Z12wvSplitK_hf_I14__hip_bfloat16Li64ELi7ELi16ELi8ELi1ELi3EEviiPKT_S3_PS1_ii
    .private_segment_fixed_size: 64
    .sgpr_count:     36
    .sgpr_spill_count: 0
    .symbol:         _Z12wvSplitK_hf_I14__hip_bfloat16Li64ELi7ELi16ELi8ELi1ELi3EEviiPKT_S3_PS1_ii.kd
    .uniform_work_group_size: 1
    .uses_dynamic_stack: false
    .vgpr_count:     50
    .vgpr_spill_count: 0
    .wavefront_size: 32
    .workgroup_processor_mode: 1
  - .args:
      - .offset:         0
        .size:           4
        .value_kind:     by_value
      - .offset:         4
        .size:           4
        .value_kind:     by_value
      - .address_space:  global
        .offset:         8
        .size:           8
        .value_kind:     global_buffer
      - .actual_access:  read_only
        .address_space:  global
        .offset:         16
        .size:           8
        .value_kind:     global_buffer
      - .address_space:  global
        .offset:         24
        .size:           8
        .value_kind:     global_buffer
      - .offset:         32
        .size:           4
        .value_kind:     by_value
      - .offset:         36
        .size:           4
        .value_kind:     by_value
      - .offset:         40
        .size:           4
        .value_kind:     hidden_block_count_x
      - .offset:         44
        .size:           4
        .value_kind:     hidden_block_count_y
      - .offset:         48
        .size:           4
        .value_kind:     hidden_block_count_z
      - .offset:         52
        .size:           2
        .value_kind:     hidden_group_size_x
      - .offset:         54
        .size:           2
        .value_kind:     hidden_group_size_y
      - .offset:         56
        .size:           2
        .value_kind:     hidden_group_size_z
      - .offset:         58
        .size:           2
        .value_kind:     hidden_remainder_x
      - .offset:         60
        .size:           2
        .value_kind:     hidden_remainder_y
      - .offset:         62
        .size:           2
        .value_kind:     hidden_remainder_z
      - .offset:         80
        .size:           8
        .value_kind:     hidden_global_offset_x
      - .offset:         88
        .size:           8
        .value_kind:     hidden_global_offset_y
      - .offset:         96
        .size:           8
        .value_kind:     hidden_global_offset_z
      - .offset:         104
        .size:           2
        .value_kind:     hidden_grid_dims
      - .offset:         120
        .size:           8
        .value_kind:     hidden_hostcall_buffer
    .group_segment_fixed_size: 0
    .kernarg_segment_align: 8
    .kernarg_segment_size: 296
    .language:       OpenCL C
    .language_version:
      - 2
      - 0
    .max_flat_workgroup_size: 1024
    .name:           _Z16wvSplitK_hf_big_I14__hip_bfloat16Li64ELi7ELi16ELi8ELi1ELi3EEviiPKT_S3_PS1_ii
    .private_segment_fixed_size: 64
    .sgpr_count:     36
    .sgpr_spill_count: 0
    .symbol:         _Z16wvSplitK_hf_big_I14__hip_bfloat16Li64ELi7ELi16ELi8ELi1ELi3EEviiPKT_S3_PS1_ii.kd
    .uniform_work_group_size: 1
    .uses_dynamic_stack: false
    .vgpr_count:     50
    .vgpr_spill_count: 0
    .wavefront_size: 32
    .workgroup_processor_mode: 1
  - .args:
      - .offset:         0
        .size:           4
        .value_kind:     by_value
      - .offset:         4
        .size:           4
        .value_kind:     by_value
      - .address_space:  global
        .offset:         8
        .size:           8
        .value_kind:     global_buffer
      - .actual_access:  read_only
        .address_space:  global
        .offset:         16
        .size:           8
        .value_kind:     global_buffer
      - .address_space:  global
        .offset:         24
        .size:           8
        .value_kind:     global_buffer
      - .offset:         32
        .size:           4
        .value_kind:     by_value
      - .offset:         36
        .size:           4
        .value_kind:     by_value
      - .offset:         40
        .size:           4
        .value_kind:     hidden_block_count_x
      - .offset:         44
        .size:           4
        .value_kind:     hidden_block_count_y
      - .offset:         48
        .size:           4
        .value_kind:     hidden_block_count_z
      - .offset:         52
        .size:           2
        .value_kind:     hidden_group_size_x
      - .offset:         54
        .size:           2
        .value_kind:     hidden_group_size_y
      - .offset:         56
        .size:           2
        .value_kind:     hidden_group_size_z
      - .offset:         58
        .size:           2
        .value_kind:     hidden_remainder_x
      - .offset:         60
        .size:           2
        .value_kind:     hidden_remainder_y
      - .offset:         62
        .size:           2
        .value_kind:     hidden_remainder_z
      - .offset:         80
        .size:           8
        .value_kind:     hidden_global_offset_x
      - .offset:         88
        .size:           8
        .value_kind:     hidden_global_offset_y
      - .offset:         96
        .size:           8
        .value_kind:     hidden_global_offset_z
      - .offset:         104
        .size:           2
        .value_kind:     hidden_grid_dims
      - .offset:         120
        .size:           8
        .value_kind:     hidden_hostcall_buffer
    .group_segment_fixed_size: 0
    .kernarg_segment_align: 8
    .kernarg_segment_size: 296
    .language:       OpenCL C
    .language_version:
      - 2
      - 0
    .max_flat_workgroup_size: 1024
    .name:           _Z16wvSplitK_hf_sml_I14__hip_bfloat16Li64ELi4ELi16ELi8ELi1ELi4EEviiPKT_S3_PS1_ii
    .private_segment_fixed_size: 64
    .sgpr_count:     36
    .sgpr_spill_count: 0
    .symbol:         _Z16wvSplitK_hf_sml_I14__hip_bfloat16Li64ELi4ELi16ELi8ELi1ELi4EEviiPKT_S3_PS1_ii.kd
    .uniform_work_group_size: 1
    .uses_dynamic_stack: false
    .vgpr_count:     50
    .vgpr_spill_count: 0
    .wavefront_size: 32
    .workgroup_processor_mode: 1
  - .args:
      - .offset:         0
        .size:           4
        .value_kind:     by_value
      - .offset:         4
        .size:           4
        .value_kind:     by_value
      - .address_space:  global
        .offset:         8
        .size:           8
        .value_kind:     global_buffer
      - .actual_access:  read_only
        .address_space:  global
        .offset:         16
        .size:           8
        .value_kind:     global_buffer
      - .address_space:  global
        .offset:         24
        .size:           8
        .value_kind:     global_buffer
      - .offset:         32
        .size:           4
        .value_kind:     by_value
      - .offset:         36
        .size:           4
        .value_kind:     by_value
      - .offset:         40
        .size:           4
        .value_kind:     hidden_block_count_x
      - .offset:         44
        .size:           4
        .value_kind:     hidden_block_count_y
      - .offset:         48
        .size:           4
        .value_kind:     hidden_block_count_z
      - .offset:         52
        .size:           2
        .value_kind:     hidden_group_size_x
      - .offset:         54
        .size:           2
        .value_kind:     hidden_group_size_y
      - .offset:         56
        .size:           2
        .value_kind:     hidden_group_size_z
      - .offset:         58
        .size:           2
        .value_kind:     hidden_remainder_x
      - .offset:         60
        .size:           2
        .value_kind:     hidden_remainder_y
      - .offset:         62
        .size:           2
        .value_kind:     hidden_remainder_z
      - .offset:         80
        .size:           8
        .value_kind:     hidden_global_offset_x
      - .offset:         88
        .size:           8
        .value_kind:     hidden_global_offset_y
      - .offset:         96
        .size:           8
        .value_kind:     hidden_global_offset_z
      - .offset:         104
        .size:           2
        .value_kind:     hidden_grid_dims
      - .offset:         120
        .size:           8
        .value_kind:     hidden_hostcall_buffer
    .group_segment_fixed_size: 0
    .kernarg_segment_align: 8
    .kernarg_segment_size: 296
    .language:       OpenCL C
    .language_version:
      - 2
      - 0
    .max_flat_workgroup_size: 1024
    .name:           _Z12wvSplitK_hf_I14__hip_bfloat16Li64ELi7ELi16ELi8ELi1ELi4EEviiPKT_S3_PS1_ii
    .private_segment_fixed_size: 64
    .sgpr_count:     36
    .sgpr_spill_count: 0
    .symbol:         _Z12wvSplitK_hf_I14__hip_bfloat16Li64ELi7ELi16ELi8ELi1ELi4EEviiPKT_S3_PS1_ii.kd
    .uniform_work_group_size: 1
    .uses_dynamic_stack: false
    .vgpr_count:     50
    .vgpr_spill_count: 0
    .wavefront_size: 32
    .workgroup_processor_mode: 1
  - .args:
      - .offset:         0
        .size:           4
        .value_kind:     by_value
      - .offset:         4
        .size:           4
        .value_kind:     by_value
      - .address_space:  global
        .offset:         8
        .size:           8
        .value_kind:     global_buffer
      - .actual_access:  read_only
        .address_space:  global
        .offset:         16
        .size:           8
        .value_kind:     global_buffer
      - .address_space:  global
        .offset:         24
        .size:           8
        .value_kind:     global_buffer
      - .offset:         32
        .size:           4
        .value_kind:     by_value
      - .offset:         36
        .size:           4
        .value_kind:     by_value
      - .offset:         40
        .size:           4
        .value_kind:     hidden_block_count_x
      - .offset:         44
        .size:           4
        .value_kind:     hidden_block_count_y
      - .offset:         48
        .size:           4
        .value_kind:     hidden_block_count_z
      - .offset:         52
        .size:           2
        .value_kind:     hidden_group_size_x
      - .offset:         54
        .size:           2
        .value_kind:     hidden_group_size_y
      - .offset:         56
        .size:           2
        .value_kind:     hidden_group_size_z
      - .offset:         58
        .size:           2
        .value_kind:     hidden_remainder_x
      - .offset:         60
        .size:           2
        .value_kind:     hidden_remainder_y
      - .offset:         62
        .size:           2
        .value_kind:     hidden_remainder_z
      - .offset:         80
        .size:           8
        .value_kind:     hidden_global_offset_x
      - .offset:         88
        .size:           8
        .value_kind:     hidden_global_offset_y
      - .offset:         96
        .size:           8
        .value_kind:     hidden_global_offset_z
      - .offset:         104
        .size:           2
        .value_kind:     hidden_grid_dims
      - .offset:         120
        .size:           8
        .value_kind:     hidden_hostcall_buffer
    .group_segment_fixed_size: 0
    .kernarg_segment_align: 8
    .kernarg_segment_size: 296
    .language:       OpenCL C
    .language_version:
      - 2
      - 0
    .max_flat_workgroup_size: 1024
    .name:           _Z16wvSplitK_hf_big_I14__hip_bfloat16Li64ELi7ELi16ELi8ELi1ELi4EEviiPKT_S3_PS1_ii
    .private_segment_fixed_size: 64
    .sgpr_count:     36
    .sgpr_spill_count: 0
    .symbol:         _Z16wvSplitK_hf_big_I14__hip_bfloat16Li64ELi7ELi16ELi8ELi1ELi4EEviiPKT_S3_PS1_ii.kd
    .uniform_work_group_size: 1
    .uses_dynamic_stack: false
    .vgpr_count:     50
    .vgpr_spill_count: 0
    .wavefront_size: 32
    .workgroup_processor_mode: 1
  - .args:
      - .offset:         0
        .size:           4
        .value_kind:     by_value
      - .offset:         4
        .size:           4
        .value_kind:     by_value
      - .offset:         8
        .size:           4
        .value_kind:     by_value
      - .address_space:  global
        .offset:         16
        .size:           8
        .value_kind:     global_buffer
      - .actual_access:  read_only
        .address_space:  global
        .offset:         24
        .size:           8
        .value_kind:     global_buffer
      - .address_space:  global
        .offset:         32
        .size:           8
        .value_kind:     global_buffer
      - .actual_access:  read_only
        .address_space:  global
        .offset:         40
        .size:           8
        .value_kind:     global_buffer
      - .actual_access:  read_only
        .address_space:  global
        .offset:         48
        .size:           8
        .value_kind:     global_buffer
      - .offset:         56
        .size:           4
        .value_kind:     by_value
      - .offset:         60
        .size:           4
        .value_kind:     by_value
      - .offset:         64
        .size:           4
        .value_kind:     hidden_block_count_x
      - .offset:         68
        .size:           4
        .value_kind:     hidden_block_count_y
      - .offset:         72
        .size:           4
        .value_kind:     hidden_block_count_z
      - .offset:         76
        .size:           2
        .value_kind:     hidden_group_size_x
      - .offset:         78
        .size:           2
        .value_kind:     hidden_group_size_y
      - .offset:         80
        .size:           2
        .value_kind:     hidden_group_size_z
      - .offset:         82
        .size:           2
        .value_kind:     hidden_remainder_x
      - .offset:         84
        .size:           2
        .value_kind:     hidden_remainder_y
      - .offset:         86
        .size:           2
        .value_kind:     hidden_remainder_z
      - .offset:         104
        .size:           8
        .value_kind:     hidden_global_offset_x
      - .offset:         112
        .size:           8
        .value_kind:     hidden_global_offset_y
      - .offset:         120
        .size:           8
        .value_kind:     hidden_global_offset_z
      - .offset:         128
        .size:           2
        .value_kind:     hidden_grid_dims
      - .offset:         144
        .size:           8
        .value_kind:     hidden_hostcall_buffer
    .group_segment_fixed_size: 0
    .kernarg_segment_align: 8
    .kernarg_segment_size: 320
    .language:       OpenCL C
    .language_version:
      - 2
      - 0
    .max_flat_workgroup_size: 1024
    .name:           _Z17wvSplitKQ_hf_sml_I6__halfN3c1013Float8_e4m3fnELi64ELi2ELi16ELi16ELi2ELi1EEviiiPKT0_S5_PT_PKfS9_ii
    .private_segment_fixed_size: 64
    .sgpr_count:     36
    .sgpr_spill_count: 0
    .symbol:         _Z17wvSplitKQ_hf_sml_I6__halfN3c1013Float8_e4m3fnELi64ELi2ELi16ELi16ELi2ELi1EEviiiPKT0_S5_PT_PKfS9_ii.kd
    .uniform_work_group_size: 1
    .uses_dynamic_stack: false
    .vgpr_count:     50
    .vgpr_spill_count: 0
    .wavefront_size: 32
    .workgroup_processor_mode: 1
  - .args:
      - .offset:         0
        .size:           4
        .value_kind:     by_value
      - .offset:         4
        .size:           4
        .value_kind:     by_value
      - .offset:         8
        .size:           4
        .value_kind:     by_value
      - .address_space:  global
        .offset:         16
        .size:           8
        .value_kind:     global_buffer
      - .actual_access:  read_only
        .address_space:  global
        .offset:         24
        .size:           8
        .value_kind:     global_buffer
      - .address_space:  global
        .offset:         32
        .size:           8
        .value_kind:     global_buffer
      - .actual_access:  read_only
        .address_space:  global
        .offset:         40
        .size:           8
        .value_kind:     global_buffer
      - .actual_access:  read_only
        .address_space:  global
        .offset:         48
        .size:           8
        .value_kind:     global_buffer
      - .offset:         56
        .size:           4
        .value_kind:     by_value
      - .offset:         60
        .size:           4
        .value_kind:     by_value
      - .offset:         64
        .size:           4
        .value_kind:     hidden_block_count_x
      - .offset:         68
        .size:           4
        .value_kind:     hidden_block_count_y
      - .offset:         72
        .size:           4
        .value_kind:     hidden_block_count_z
      - .offset:         76
        .size:           2
        .value_kind:     hidden_group_size_x
      - .offset:         78
        .size:           2
        .value_kind:     hidden_group_size_y
      - .offset:         80
        .size:           2
        .value_kind:     hidden_group_size_z
      - .offset:         82
        .size:           2
        .value_kind:     hidden_remainder_x
      - .offset:         84
        .size:           2
        .value_kind:     hidden_remainder_y
      - .offset:         86
        .size:           2
        .value_kind:     hidden_remainder_z
      - .offset:         104
        .size:           8
        .value_kind:     hidden_global_offset_x
      - .offset:         112
        .size:           8
        .value_kind:     hidden_global_offset_y
      - .offset:         120
        .size:           8
        .value_kind:     hidden_global_offset_z
      - .offset:         128
        .size:           2
        .value_kind:     hidden_grid_dims
      - .offset:         144
        .size:           8
        .value_kind:     hidden_hostcall_buffer
    .group_segment_fixed_size: 0
    .kernarg_segment_align: 8
    .kernarg_segment_size: 320
    .language:       OpenCL C
    .language_version:
      - 2
      - 0
    .max_flat_workgroup_size: 1024
    .name:           _Z13wvSplitKQ_hf_I6__halfN3c1013Float8_e4m3fnELi64ELi2ELi16ELi16ELi2ELi1EEviiiPKT0_S5_PT_PKfS9_ii
    .private_segment_fixed_size: 64
    .sgpr_count:     36
    .sgpr_spill_count: 0
    .symbol:         _Z13wvSplitKQ_hf_I6__halfN3c1013Float8_e4m3fnELi64ELi2ELi16ELi16ELi2ELi1EEviiiPKT0_S5_PT_PKfS9_ii.kd
    .uniform_work_group_size: 1
    .uses_dynamic_stack: false
    .vgpr_count:     50
    .vgpr_spill_count: 0
    .wavefront_size: 32
    .workgroup_processor_mode: 1
  - .args:
      - .offset:         0
        .size:           4
        .value_kind:     by_value
      - .offset:         4
        .size:           4
        .value_kind:     by_value
      - .offset:         8
        .size:           4
        .value_kind:     by_value
      - .address_space:  global
        .offset:         16
        .size:           8
        .value_kind:     global_buffer
      - .actual_access:  read_only
        .address_space:  global
        .offset:         24
        .size:           8
        .value_kind:     global_buffer
      - .address_space:  global
        .offset:         32
        .size:           8
        .value_kind:     global_buffer
      - .actual_access:  read_only
        .address_space:  global
        .offset:         40
        .size:           8
        .value_kind:     global_buffer
      - .actual_access:  read_only
        .address_space:  global
        .offset:         48
        .size:           8
        .value_kind:     global_buffer
      - .offset:         56
        .size:           4
        .value_kind:     by_value
      - .offset:         60
        .size:           4
        .value_kind:     by_value
      - .offset:         64
        .size:           4
        .value_kind:     hidden_block_count_x
      - .offset:         68
        .size:           4
        .value_kind:     hidden_block_count_y
      - .offset:         72
        .size:           4
        .value_kind:     hidden_block_count_z
      - .offset:         76
        .size:           2
        .value_kind:     hidden_group_size_x
      - .offset:         78
        .size:           2
        .value_kind:     hidden_group_size_y
      - .offset:         80
        .size:           2
        .value_kind:     hidden_group_size_z
      - .offset:         82
        .size:           2
        .value_kind:     hidden_remainder_x
      - .offset:         84
        .size:           2
        .value_kind:     hidden_remainder_y
      - .offset:         86
        .size:           2
        .value_kind:     hidden_remainder_z
      - .offset:         104
        .size:           8
        .value_kind:     hidden_global_offset_x
      - .offset:         112
        .size:           8
        .value_kind:     hidden_global_offset_y
      - .offset:         120
        .size:           8
        .value_kind:     hidden_global_offset_z
      - .offset:         128
        .size:           2
        .value_kind:     hidden_grid_dims
      - .offset:         144
        .size:           8
        .value_kind:     hidden_hostcall_buffer
    .group_segment_fixed_size: 0
    .kernarg_segment_align: 8
    .kernarg_segment_size: 320
    .language:       OpenCL C
    .language_version:
      - 2
      - 0
    .max_flat_workgroup_size: 1024
    .name:           _Z17wvSplitKQ_hf_sml_I6__halfN3c1013Float8_e4m3fnELi64ELi2ELi16ELi16ELi2ELi2EEviiiPKT0_S5_PT_PKfS9_ii
    .private_segment_fixed_size: 64
    .sgpr_count:     36
    .sgpr_spill_count: 0
    .symbol:         _Z17wvSplitKQ_hf_sml_I6__halfN3c1013Float8_e4m3fnELi64ELi2ELi16ELi16ELi2ELi2EEviiiPKT0_S5_PT_PKfS9_ii.kd
    .uniform_work_group_size: 1
    .uses_dynamic_stack: false
    .vgpr_count:     50
    .vgpr_spill_count: 0
    .wavefront_size: 32
    .workgroup_processor_mode: 1
  - .args:
      - .offset:         0
        .size:           4
        .value_kind:     by_value
      - .offset:         4
        .size:           4
        .value_kind:     by_value
      - .offset:         8
        .size:           4
        .value_kind:     by_value
      - .address_space:  global
        .offset:         16
        .size:           8
        .value_kind:     global_buffer
      - .actual_access:  read_only
        .address_space:  global
        .offset:         24
        .size:           8
        .value_kind:     global_buffer
      - .address_space:  global
        .offset:         32
        .size:           8
        .value_kind:     global_buffer
      - .actual_access:  read_only
        .address_space:  global
        .offset:         40
        .size:           8
        .value_kind:     global_buffer
      - .actual_access:  read_only
        .address_space:  global
        .offset:         48
        .size:           8
        .value_kind:     global_buffer
      - .offset:         56
        .size:           4
        .value_kind:     by_value
      - .offset:         60
        .size:           4
        .value_kind:     by_value
      - .offset:         64
        .size:           4
        .value_kind:     hidden_block_count_x
      - .offset:         68
        .size:           4
        .value_kind:     hidden_block_count_y
      - .offset:         72
        .size:           4
        .value_kind:     hidden_block_count_z
      - .offset:         76
        .size:           2
        .value_kind:     hidden_group_size_x
      - .offset:         78
        .size:           2
        .value_kind:     hidden_group_size_y
      - .offset:         80
        .size:           2
        .value_kind:     hidden_group_size_z
      - .offset:         82
        .size:           2
        .value_kind:     hidden_remainder_x
      - .offset:         84
        .size:           2
        .value_kind:     hidden_remainder_y
      - .offset:         86
        .size:           2
        .value_kind:     hidden_remainder_z
      - .offset:         104
        .size:           8
        .value_kind:     hidden_global_offset_x
      - .offset:         112
        .size:           8
        .value_kind:     hidden_global_offset_y
      - .offset:         120
        .size:           8
        .value_kind:     hidden_global_offset_z
      - .offset:         128
        .size:           2
        .value_kind:     hidden_grid_dims
      - .offset:         144
        .size:           8
        .value_kind:     hidden_hostcall_buffer
    .group_segment_fixed_size: 0
    .kernarg_segment_align: 8
    .kernarg_segment_size: 320
    .language:       OpenCL C
    .language_version:
      - 2
      - 0
    .max_flat_workgroup_size: 1024
    .name:           _Z13wvSplitKQ_hf_I6__halfN3c1013Float8_e4m3fnELi64ELi2ELi16ELi16ELi2ELi2EEviiiPKT0_S5_PT_PKfS9_ii
    .private_segment_fixed_size: 64
    .sgpr_count:     36
    .sgpr_spill_count: 0
    .symbol:         _Z13wvSplitKQ_hf_I6__halfN3c1013Float8_e4m3fnELi64ELi2ELi16ELi16ELi2ELi2EEviiiPKT0_S5_PT_PKfS9_ii.kd
    .uniform_work_group_size: 1
    .uses_dynamic_stack: false
    .vgpr_count:     50
    .vgpr_spill_count: 0
    .wavefront_size: 32
    .workgroup_processor_mode: 1
  - .args:
      - .offset:         0
        .size:           4
        .value_kind:     by_value
      - .offset:         4
        .size:           4
        .value_kind:     by_value
      - .offset:         8
        .size:           4
        .value_kind:     by_value
      - .address_space:  global
        .offset:         16
        .size:           8
        .value_kind:     global_buffer
      - .actual_access:  read_only
        .address_space:  global
        .offset:         24
        .size:           8
        .value_kind:     global_buffer
      - .address_space:  global
        .offset:         32
        .size:           8
        .value_kind:     global_buffer
      - .actual_access:  read_only
        .address_space:  global
        .offset:         40
        .size:           8
        .value_kind:     global_buffer
      - .actual_access:  read_only
        .address_space:  global
        .offset:         48
        .size:           8
        .value_kind:     global_buffer
      - .offset:         56
        .size:           4
        .value_kind:     by_value
      - .offset:         60
        .size:           4
        .value_kind:     by_value
      - .offset:         64
        .size:           4
        .value_kind:     hidden_block_count_x
      - .offset:         68
        .size:           4
        .value_kind:     hidden_block_count_y
      - .offset:         72
        .size:           4
        .value_kind:     hidden_block_count_z
      - .offset:         76
        .size:           2
        .value_kind:     hidden_group_size_x
      - .offset:         78
        .size:           2
        .value_kind:     hidden_group_size_y
      - .offset:         80
        .size:           2
        .value_kind:     hidden_group_size_z
      - .offset:         82
        .size:           2
        .value_kind:     hidden_remainder_x
      - .offset:         84
        .size:           2
        .value_kind:     hidden_remainder_y
      - .offset:         86
        .size:           2
        .value_kind:     hidden_remainder_z
      - .offset:         104
        .size:           8
        .value_kind:     hidden_global_offset_x
      - .offset:         112
        .size:           8
        .value_kind:     hidden_global_offset_y
      - .offset:         120
        .size:           8
        .value_kind:     hidden_global_offset_z
      - .offset:         128
        .size:           2
        .value_kind:     hidden_grid_dims
      - .offset:         144
        .size:           8
        .value_kind:     hidden_hostcall_buffer
    .group_segment_fixed_size: 0
    .kernarg_segment_align: 8
    .kernarg_segment_size: 320
    .language:       OpenCL C
    .language_version:
      - 2
      - 0
    .max_flat_workgroup_size: 1024
    .name:           _Z17wvSplitKQ_hf_sml_I6__halfN3c1013Float8_e4m3fnELi64ELi4ELi16ELi16ELi1ELi3EEviiiPKT0_S5_PT_PKfS9_ii
    .private_segment_fixed_size: 64
    .sgpr_count:     36
    .sgpr_spill_count: 0
    .symbol:         _Z17wvSplitKQ_hf_sml_I6__halfN3c1013Float8_e4m3fnELi64ELi4ELi16ELi16ELi1ELi3EEviiiPKT0_S5_PT_PKfS9_ii.kd
    .uniform_work_group_size: 1
    .uses_dynamic_stack: false
    .vgpr_count:     50
    .vgpr_spill_count: 0
    .wavefront_size: 32
    .workgroup_processor_mode: 1
  - .args:
      - .offset:         0
        .size:           4
        .value_kind:     by_value
      - .offset:         4
        .size:           4
        .value_kind:     by_value
      - .offset:         8
        .size:           4
        .value_kind:     by_value
      - .address_space:  global
        .offset:         16
        .size:           8
        .value_kind:     global_buffer
      - .actual_access:  read_only
        .address_space:  global
        .offset:         24
        .size:           8
        .value_kind:     global_buffer
      - .address_space:  global
        .offset:         32
        .size:           8
        .value_kind:     global_buffer
      - .actual_access:  read_only
        .address_space:  global
        .offset:         40
        .size:           8
        .value_kind:     global_buffer
      - .actual_access:  read_only
        .address_space:  global
        .offset:         48
        .size:           8
        .value_kind:     global_buffer
      - .offset:         56
        .size:           4
        .value_kind:     by_value
      - .offset:         60
        .size:           4
        .value_kind:     by_value
      - .offset:         64
        .size:           4
        .value_kind:     hidden_block_count_x
      - .offset:         68
        .size:           4
        .value_kind:     hidden_block_count_y
      - .offset:         72
        .size:           4
        .value_kind:     hidden_block_count_z
      - .offset:         76
        .size:           2
        .value_kind:     hidden_group_size_x
      - .offset:         78
        .size:           2
        .value_kind:     hidden_group_size_y
      - .offset:         80
        .size:           2
        .value_kind:     hidden_group_size_z
      - .offset:         82
        .size:           2
        .value_kind:     hidden_remainder_x
      - .offset:         84
        .size:           2
        .value_kind:     hidden_remainder_y
      - .offset:         86
        .size:           2
        .value_kind:     hidden_remainder_z
      - .offset:         104
        .size:           8
        .value_kind:     hidden_global_offset_x
      - .offset:         112
        .size:           8
        .value_kind:     hidden_global_offset_y
      - .offset:         120
        .size:           8
        .value_kind:     hidden_global_offset_z
      - .offset:         128
        .size:           2
        .value_kind:     hidden_grid_dims
      - .offset:         144
        .size:           8
        .value_kind:     hidden_hostcall_buffer
    .group_segment_fixed_size: 0
    .kernarg_segment_align: 8
    .kernarg_segment_size: 320
    .language:       OpenCL C
    .language_version:
      - 2
      - 0
    .max_flat_workgroup_size: 1024
    .name:           _Z13wvSplitKQ_hf_I6__halfN3c1013Float8_e4m3fnELi64ELi7ELi16ELi16ELi1ELi3EEviiiPKT0_S5_PT_PKfS9_ii
    .private_segment_fixed_size: 64
    .sgpr_count:     36
    .sgpr_spill_count: 0
    .symbol:         _Z13wvSplitKQ_hf_I6__halfN3c1013Float8_e4m3fnELi64ELi7ELi16ELi16ELi1ELi3EEviiiPKT0_S5_PT_PKfS9_ii.kd
    .uniform_work_group_size: 1
    .uses_dynamic_stack: false
    .vgpr_count:     50
    .vgpr_spill_count: 0
    .wavefront_size: 32
    .workgroup_processor_mode: 1
  - .args:
      - .offset:         0
        .size:           4
        .value_kind:     by_value
      - .offset:         4
        .size:           4
        .value_kind:     by_value
      - .offset:         8
        .size:           4
        .value_kind:     by_value
      - .address_space:  global
        .offset:         16
        .size:           8
        .value_kind:     global_buffer
      - .actual_access:  read_only
        .address_space:  global
        .offset:         24
        .size:           8
        .value_kind:     global_buffer
      - .address_space:  global
        .offset:         32
        .size:           8
        .value_kind:     global_buffer
      - .actual_access:  read_only
        .address_space:  global
        .offset:         40
        .size:           8
        .value_kind:     global_buffer
      - .actual_access:  read_only
        .address_space:  global
        .offset:         48
        .size:           8
        .value_kind:     global_buffer
      - .offset:         56
        .size:           4
        .value_kind:     by_value
      - .offset:         60
        .size:           4
        .value_kind:     by_value
      - .offset:         64
        .size:           4
        .value_kind:     hidden_block_count_x
      - .offset:         68
        .size:           4
        .value_kind:     hidden_block_count_y
      - .offset:         72
        .size:           4
        .value_kind:     hidden_block_count_z
      - .offset:         76
        .size:           2
        .value_kind:     hidden_group_size_x
      - .offset:         78
        .size:           2
        .value_kind:     hidden_group_size_y
      - .offset:         80
        .size:           2
        .value_kind:     hidden_group_size_z
      - .offset:         82
        .size:           2
        .value_kind:     hidden_remainder_x
      - .offset:         84
        .size:           2
        .value_kind:     hidden_remainder_y
      - .offset:         86
        .size:           2
        .value_kind:     hidden_remainder_z
      - .offset:         104
        .size:           8
        .value_kind:     hidden_global_offset_x
      - .offset:         112
        .size:           8
        .value_kind:     hidden_global_offset_y
      - .offset:         120
        .size:           8
        .value_kind:     hidden_global_offset_z
      - .offset:         128
        .size:           2
        .value_kind:     hidden_grid_dims
      - .offset:         144
        .size:           8
        .value_kind:     hidden_hostcall_buffer
    .group_segment_fixed_size: 0
    .kernarg_segment_align: 8
    .kernarg_segment_size: 320
    .language:       OpenCL C
    .language_version:
      - 2
      - 0
    .max_flat_workgroup_size: 1024
    .name:           _Z17wvSplitKQ_hf_sml_I6__halfN3c1013Float8_e4m3fnELi64ELi4ELi16ELi16ELi1ELi4EEviiiPKT0_S5_PT_PKfS9_ii
    .private_segment_fixed_size: 64
    .sgpr_count:     36
    .sgpr_spill_count: 0
    .symbol:         _Z17wvSplitKQ_hf_sml_I6__halfN3c1013Float8_e4m3fnELi64ELi4ELi16ELi16ELi1ELi4EEviiiPKT0_S5_PT_PKfS9_ii.kd
    .uniform_work_group_size: 1
    .uses_dynamic_stack: false
    .vgpr_count:     50
    .vgpr_spill_count: 0
    .wavefront_size: 32
    .workgroup_processor_mode: 1
  - .args:
      - .offset:         0
        .size:           4
        .value_kind:     by_value
      - .offset:         4
        .size:           4
        .value_kind:     by_value
      - .offset:         8
        .size:           4
        .value_kind:     by_value
      - .address_space:  global
        .offset:         16
        .size:           8
        .value_kind:     global_buffer
      - .actual_access:  read_only
        .address_space:  global
        .offset:         24
        .size:           8
        .value_kind:     global_buffer
      - .address_space:  global
        .offset:         32
        .size:           8
        .value_kind:     global_buffer
      - .actual_access:  read_only
        .address_space:  global
        .offset:         40
        .size:           8
        .value_kind:     global_buffer
      - .actual_access:  read_only
        .address_space:  global
        .offset:         48
        .size:           8
        .value_kind:     global_buffer
      - .offset:         56
        .size:           4
        .value_kind:     by_value
      - .offset:         60
        .size:           4
        .value_kind:     by_value
      - .offset:         64
        .size:           4
        .value_kind:     hidden_block_count_x
      - .offset:         68
        .size:           4
        .value_kind:     hidden_block_count_y
      - .offset:         72
        .size:           4
        .value_kind:     hidden_block_count_z
      - .offset:         76
        .size:           2
        .value_kind:     hidden_group_size_x
      - .offset:         78
        .size:           2
        .value_kind:     hidden_group_size_y
      - .offset:         80
        .size:           2
        .value_kind:     hidden_group_size_z
      - .offset:         82
        .size:           2
        .value_kind:     hidden_remainder_x
      - .offset:         84
        .size:           2
        .value_kind:     hidden_remainder_y
      - .offset:         86
        .size:           2
        .value_kind:     hidden_remainder_z
      - .offset:         104
        .size:           8
        .value_kind:     hidden_global_offset_x
      - .offset:         112
        .size:           8
        .value_kind:     hidden_global_offset_y
      - .offset:         120
        .size:           8
        .value_kind:     hidden_global_offset_z
      - .offset:         128
        .size:           2
        .value_kind:     hidden_grid_dims
      - .offset:         144
        .size:           8
        .value_kind:     hidden_hostcall_buffer
    .group_segment_fixed_size: 0
    .kernarg_segment_align: 8
    .kernarg_segment_size: 320
    .language:       OpenCL C
    .language_version:
      - 2
      - 0
    .max_flat_workgroup_size: 1024
    .name:           _Z13wvSplitKQ_hf_I6__halfN3c1013Float8_e4m3fnELi64ELi7ELi16ELi16ELi1ELi4EEviiiPKT0_S5_PT_PKfS9_ii
    .private_segment_fixed_size: 64
    .sgpr_count:     36
    .sgpr_spill_count: 0
    .symbol:         _Z13wvSplitKQ_hf_I6__halfN3c1013Float8_e4m3fnELi64ELi7ELi16ELi16ELi1ELi4EEviiiPKT0_S5_PT_PKfS9_ii.kd
    .uniform_work_group_size: 1
    .uses_dynamic_stack: false
    .vgpr_count:     50
    .vgpr_spill_count: 0
    .wavefront_size: 32
    .workgroup_processor_mode: 1
  - .args:
      - .offset:         0
        .size:           4
        .value_kind:     by_value
      - .offset:         4
        .size:           4
        .value_kind:     by_value
      - .offset:         8
        .size:           4
        .value_kind:     by_value
      - .address_space:  global
        .offset:         16
        .size:           8
        .value_kind:     global_buffer
      - .actual_access:  read_only
        .address_space:  global
        .offset:         24
        .size:           8
        .value_kind:     global_buffer
      - .address_space:  global
        .offset:         32
        .size:           8
        .value_kind:     global_buffer
      - .actual_access:  read_only
        .address_space:  global
        .offset:         40
        .size:           8
        .value_kind:     global_buffer
      - .actual_access:  read_only
        .address_space:  global
        .offset:         48
        .size:           8
        .value_kind:     global_buffer
      - .offset:         56
        .size:           4
        .value_kind:     by_value
      - .offset:         60
        .size:           4
        .value_kind:     by_value
      - .offset:         64
        .size:           4
        .value_kind:     hidden_block_count_x
      - .offset:         68
        .size:           4
        .value_kind:     hidden_block_count_y
      - .offset:         72
        .size:           4
        .value_kind:     hidden_block_count_z
      - .offset:         76
        .size:           2
        .value_kind:     hidden_group_size_x
      - .offset:         78
        .size:           2
        .value_kind:     hidden_group_size_y
      - .offset:         80
        .size:           2
        .value_kind:     hidden_group_size_z
      - .offset:         82
        .size:           2
        .value_kind:     hidden_remainder_x
      - .offset:         84
        .size:           2
        .value_kind:     hidden_remainder_y
      - .offset:         86
        .size:           2
        .value_kind:     hidden_remainder_z
      - .offset:         104
        .size:           8
        .value_kind:     hidden_global_offset_x
      - .offset:         112
        .size:           8
        .value_kind:     hidden_global_offset_y
      - .offset:         120
        .size:           8
        .value_kind:     hidden_global_offset_z
      - .offset:         128
        .size:           2
        .value_kind:     hidden_grid_dims
      - .offset:         144
        .size:           8
        .value_kind:     hidden_hostcall_buffer
    .group_segment_fixed_size: 0
    .kernarg_segment_align: 8
    .kernarg_segment_size: 320
    .language:       OpenCL C
    .language_version:
      - 2
      - 0
    .max_flat_workgroup_size: 1024
    .name:           _Z17wvSplitKQ_hf_sml_I6__halfN3c1015Float8_e4m3fnuzELi64ELi2ELi16ELi16ELi2ELi1EEviiiPKT0_S5_PT_PKfS9_ii
    .private_segment_fixed_size: 64
    .sgpr_count:     36
    .sgpr_spill_count: 0
    .symbol:         _Z17wvSplitKQ_hf_sml_I6__halfN3c1015Float8_e4m3fnuzELi64ELi2ELi16ELi16ELi2ELi1EEviiiPKT0_S5_PT_PKfS9_ii.kd
    .uniform_work_group_size: 1
    .uses_dynamic_stack: false
    .vgpr_count:     50
    .vgpr_spill_count: 0
    .wavefront_size: 32
    .workgroup_processor_mode: 1
  - .args:
      - .offset:         0
        .size:           4
        .value_kind:     by_value
      - .offset:         4
        .size:           4
        .value_kind:     by_value
      - .offset:         8
        .size:           4
        .value_kind:     by_value
      - .address_space:  global
        .offset:         16
        .size:           8
        .value_kind:     global_buffer
      - .actual_access:  read_only
        .address_space:  global
        .offset:         24
        .size:           8
        .value_kind:     global_buffer
      - .address_space:  global
        .offset:         32
        .size:           8
        .value_kind:     global_buffer
      - .actual_access:  read_only
        .address_space:  global
        .offset:         40
        .size:           8
        .value_kind:     global_buffer
      - .actual_access:  read_only
        .address_space:  global
        .offset:         48
        .size:           8
        .value_kind:     global_buffer
      - .offset:         56
        .size:           4
        .value_kind:     by_value
      - .offset:         60
        .size:           4
        .value_kind:     by_value
      - .offset:         64
        .size:           4
        .value_kind:     hidden_block_count_x
      - .offset:         68
        .size:           4
        .value_kind:     hidden_block_count_y
      - .offset:         72
        .size:           4
        .value_kind:     hidden_block_count_z
      - .offset:         76
        .size:           2
        .value_kind:     hidden_group_size_x
      - .offset:         78
        .size:           2
        .value_kind:     hidden_group_size_y
      - .offset:         80
        .size:           2
        .value_kind:     hidden_group_size_z
      - .offset:         82
        .size:           2
        .value_kind:     hidden_remainder_x
      - .offset:         84
        .size:           2
        .value_kind:     hidden_remainder_y
      - .offset:         86
        .size:           2
        .value_kind:     hidden_remainder_z
      - .offset:         104
        .size:           8
        .value_kind:     hidden_global_offset_x
      - .offset:         112
        .size:           8
        .value_kind:     hidden_global_offset_y
      - .offset:         120
        .size:           8
        .value_kind:     hidden_global_offset_z
      - .offset:         128
        .size:           2
        .value_kind:     hidden_grid_dims
      - .offset:         144
        .size:           8
        .value_kind:     hidden_hostcall_buffer
    .group_segment_fixed_size: 0
    .kernarg_segment_align: 8
    .kernarg_segment_size: 320
    .language:       OpenCL C
    .language_version:
      - 2
      - 0
    .max_flat_workgroup_size: 1024
    .name:           _Z13wvSplitKQ_hf_I6__halfN3c1015Float8_e4m3fnuzELi64ELi2ELi16ELi16ELi2ELi1EEviiiPKT0_S5_PT_PKfS9_ii
    .private_segment_fixed_size: 64
    .sgpr_count:     36
    .sgpr_spill_count: 0
    .symbol:         _Z13wvSplitKQ_hf_I6__halfN3c1015Float8_e4m3fnuzELi64ELi2ELi16ELi16ELi2ELi1EEviiiPKT0_S5_PT_PKfS9_ii.kd
    .uniform_work_group_size: 1
    .uses_dynamic_stack: false
    .vgpr_count:     50
    .vgpr_spill_count: 0
    .wavefront_size: 32
    .workgroup_processor_mode: 1
  - .args:
      - .offset:         0
        .size:           4
        .value_kind:     by_value
      - .offset:         4
        .size:           4
        .value_kind:     by_value
      - .offset:         8
        .size:           4
        .value_kind:     by_value
      - .address_space:  global
        .offset:         16
        .size:           8
        .value_kind:     global_buffer
      - .actual_access:  read_only
        .address_space:  global
        .offset:         24
        .size:           8
        .value_kind:     global_buffer
      - .address_space:  global
        .offset:         32
        .size:           8
        .value_kind:     global_buffer
      - .actual_access:  read_only
        .address_space:  global
        .offset:         40
        .size:           8
        .value_kind:     global_buffer
      - .actual_access:  read_only
        .address_space:  global
        .offset:         48
        .size:           8
        .value_kind:     global_buffer
      - .offset:         56
        .size:           4
        .value_kind:     by_value
      - .offset:         60
        .size:           4
        .value_kind:     by_value
      - .offset:         64
        .size:           4
        .value_kind:     hidden_block_count_x
      - .offset:         68
        .size:           4
        .value_kind:     hidden_block_count_y
      - .offset:         72
        .size:           4
        .value_kind:     hidden_block_count_z
      - .offset:         76
        .size:           2
        .value_kind:     hidden_group_size_x
      - .offset:         78
        .size:           2
        .value_kind:     hidden_group_size_y
      - .offset:         80
        .size:           2
        .value_kind:     hidden_group_size_z
      - .offset:         82
        .size:           2
        .value_kind:     hidden_remainder_x
      - .offset:         84
        .size:           2
        .value_kind:     hidden_remainder_y
      - .offset:         86
        .size:           2
        .value_kind:     hidden_remainder_z
      - .offset:         104
        .size:           8
        .value_kind:     hidden_global_offset_x
      - .offset:         112
        .size:           8
        .value_kind:     hidden_global_offset_y
      - .offset:         120
        .size:           8
        .value_kind:     hidden_global_offset_z
      - .offset:         128
        .size:           2
        .value_kind:     hidden_grid_dims
      - .offset:         144
        .size:           8
        .value_kind:     hidden_hostcall_buffer
    .group_segment_fixed_size: 0
    .kernarg_segment_align: 8
    .kernarg_segment_size: 320
    .language:       OpenCL C
    .language_version:
      - 2
      - 0
    .max_flat_workgroup_size: 1024
    .name:           _Z17wvSplitKQ_hf_sml_I6__halfN3c1015Float8_e4m3fnuzELi64ELi2ELi16ELi16ELi2ELi2EEviiiPKT0_S5_PT_PKfS9_ii
    .private_segment_fixed_size: 64
    .sgpr_count:     36
    .sgpr_spill_count: 0
    .symbol:         _Z17wvSplitKQ_hf_sml_I6__halfN3c1015Float8_e4m3fnuzELi64ELi2ELi16ELi16ELi2ELi2EEviiiPKT0_S5_PT_PKfS9_ii.kd
    .uniform_work_group_size: 1
    .uses_dynamic_stack: false
    .vgpr_count:     50
    .vgpr_spill_count: 0
    .wavefront_size: 32
    .workgroup_processor_mode: 1
  - .args:
      - .offset:         0
        .size:           4
        .value_kind:     by_value
      - .offset:         4
        .size:           4
        .value_kind:     by_value
      - .offset:         8
        .size:           4
        .value_kind:     by_value
      - .address_space:  global
        .offset:         16
        .size:           8
        .value_kind:     global_buffer
      - .actual_access:  read_only
        .address_space:  global
        .offset:         24
        .size:           8
        .value_kind:     global_buffer
      - .address_space:  global
        .offset:         32
        .size:           8
        .value_kind:     global_buffer
      - .actual_access:  read_only
        .address_space:  global
        .offset:         40
        .size:           8
        .value_kind:     global_buffer
      - .actual_access:  read_only
        .address_space:  global
        .offset:         48
        .size:           8
        .value_kind:     global_buffer
      - .offset:         56
        .size:           4
        .value_kind:     by_value
      - .offset:         60
        .size:           4
        .value_kind:     by_value
      - .offset:         64
        .size:           4
        .value_kind:     hidden_block_count_x
      - .offset:         68
        .size:           4
        .value_kind:     hidden_block_count_y
      - .offset:         72
        .size:           4
        .value_kind:     hidden_block_count_z
      - .offset:         76
        .size:           2
        .value_kind:     hidden_group_size_x
      - .offset:         78
        .size:           2
        .value_kind:     hidden_group_size_y
      - .offset:         80
        .size:           2
        .value_kind:     hidden_group_size_z
      - .offset:         82
        .size:           2
        .value_kind:     hidden_remainder_x
      - .offset:         84
        .size:           2
        .value_kind:     hidden_remainder_y
      - .offset:         86
        .size:           2
        .value_kind:     hidden_remainder_z
      - .offset:         104
        .size:           8
        .value_kind:     hidden_global_offset_x
      - .offset:         112
        .size:           8
        .value_kind:     hidden_global_offset_y
      - .offset:         120
        .size:           8
        .value_kind:     hidden_global_offset_z
      - .offset:         128
        .size:           2
        .value_kind:     hidden_grid_dims
      - .offset:         144
        .size:           8
        .value_kind:     hidden_hostcall_buffer
    .group_segment_fixed_size: 0
    .kernarg_segment_align: 8
    .kernarg_segment_size: 320
    .language:       OpenCL C
    .language_version:
      - 2
      - 0
    .max_flat_workgroup_size: 1024
    .name:           _Z13wvSplitKQ_hf_I6__halfN3c1015Float8_e4m3fnuzELi64ELi2ELi16ELi16ELi2ELi2EEviiiPKT0_S5_PT_PKfS9_ii
    .private_segment_fixed_size: 64
    .sgpr_count:     36
    .sgpr_spill_count: 0
    .symbol:         _Z13wvSplitKQ_hf_I6__halfN3c1015Float8_e4m3fnuzELi64ELi2ELi16ELi16ELi2ELi2EEviiiPKT0_S5_PT_PKfS9_ii.kd
    .uniform_work_group_size: 1
    .uses_dynamic_stack: false
    .vgpr_count:     50
    .vgpr_spill_count: 0
    .wavefront_size: 32
    .workgroup_processor_mode: 1
  - .args:
      - .offset:         0
        .size:           4
        .value_kind:     by_value
      - .offset:         4
        .size:           4
        .value_kind:     by_value
      - .offset:         8
        .size:           4
        .value_kind:     by_value
      - .address_space:  global
        .offset:         16
        .size:           8
        .value_kind:     global_buffer
      - .actual_access:  read_only
        .address_space:  global
        .offset:         24
        .size:           8
        .value_kind:     global_buffer
      - .address_space:  global
        .offset:         32
        .size:           8
        .value_kind:     global_buffer
      - .actual_access:  read_only
        .address_space:  global
        .offset:         40
        .size:           8
        .value_kind:     global_buffer
      - .actual_access:  read_only
        .address_space:  global
        .offset:         48
        .size:           8
        .value_kind:     global_buffer
      - .offset:         56
        .size:           4
        .value_kind:     by_value
      - .offset:         60
        .size:           4
        .value_kind:     by_value
      - .offset:         64
        .size:           4
        .value_kind:     hidden_block_count_x
      - .offset:         68
        .size:           4
        .value_kind:     hidden_block_count_y
      - .offset:         72
        .size:           4
        .value_kind:     hidden_block_count_z
      - .offset:         76
        .size:           2
        .value_kind:     hidden_group_size_x
      - .offset:         78
        .size:           2
        .value_kind:     hidden_group_size_y
      - .offset:         80
        .size:           2
        .value_kind:     hidden_group_size_z
      - .offset:         82
        .size:           2
        .value_kind:     hidden_remainder_x
      - .offset:         84
        .size:           2
        .value_kind:     hidden_remainder_y
      - .offset:         86
        .size:           2
        .value_kind:     hidden_remainder_z
      - .offset:         104
        .size:           8
        .value_kind:     hidden_global_offset_x
      - .offset:         112
        .size:           8
        .value_kind:     hidden_global_offset_y
      - .offset:         120
        .size:           8
        .value_kind:     hidden_global_offset_z
      - .offset:         128
        .size:           2
        .value_kind:     hidden_grid_dims
      - .offset:         144
        .size:           8
        .value_kind:     hidden_hostcall_buffer
    .group_segment_fixed_size: 0
    .kernarg_segment_align: 8
    .kernarg_segment_size: 320
    .language:       OpenCL C
    .language_version:
      - 2
      - 0
    .max_flat_workgroup_size: 1024
    .name:           _Z17wvSplitKQ_hf_sml_I6__halfN3c1015Float8_e4m3fnuzELi64ELi4ELi16ELi16ELi1ELi3EEviiiPKT0_S5_PT_PKfS9_ii
    .private_segment_fixed_size: 64
    .sgpr_count:     36
    .sgpr_spill_count: 0
    .symbol:         _Z17wvSplitKQ_hf_sml_I6__halfN3c1015Float8_e4m3fnuzELi64ELi4ELi16ELi16ELi1ELi3EEviiiPKT0_S5_PT_PKfS9_ii.kd
    .uniform_work_group_size: 1
    .uses_dynamic_stack: false
    .vgpr_count:     50
    .vgpr_spill_count: 0
    .wavefront_size: 32
    .workgroup_processor_mode: 1
  - .args:
      - .offset:         0
        .size:           4
        .value_kind:     by_value
      - .offset:         4
        .size:           4
        .value_kind:     by_value
      - .offset:         8
        .size:           4
        .value_kind:     by_value
      - .address_space:  global
        .offset:         16
        .size:           8
        .value_kind:     global_buffer
      - .actual_access:  read_only
        .address_space:  global
        .offset:         24
        .size:           8
        .value_kind:     global_buffer
      - .address_space:  global
        .offset:         32
        .size:           8
        .value_kind:     global_buffer
      - .actual_access:  read_only
        .address_space:  global
        .offset:         40
        .size:           8
        .value_kind:     global_buffer
      - .actual_access:  read_only
        .address_space:  global
        .offset:         48
        .size:           8
        .value_kind:     global_buffer
      - .offset:         56
        .size:           4
        .value_kind:     by_value
      - .offset:         60
        .size:           4
        .value_kind:     by_value
      - .offset:         64
        .size:           4
        .value_kind:     hidden_block_count_x
      - .offset:         68
        .size:           4
        .value_kind:     hidden_block_count_y
      - .offset:         72
        .size:           4
        .value_kind:     hidden_block_count_z
      - .offset:         76
        .size:           2
        .value_kind:     hidden_group_size_x
      - .offset:         78
        .size:           2
        .value_kind:     hidden_group_size_y
      - .offset:         80
        .size:           2
        .value_kind:     hidden_group_size_z
      - .offset:         82
        .size:           2
        .value_kind:     hidden_remainder_x
      - .offset:         84
        .size:           2
        .value_kind:     hidden_remainder_y
      - .offset:         86
        .size:           2
        .value_kind:     hidden_remainder_z
      - .offset:         104
        .size:           8
        .value_kind:     hidden_global_offset_x
      - .offset:         112
        .size:           8
        .value_kind:     hidden_global_offset_y
      - .offset:         120
        .size:           8
        .value_kind:     hidden_global_offset_z
      - .offset:         128
        .size:           2
        .value_kind:     hidden_grid_dims
      - .offset:         144
        .size:           8
        .value_kind:     hidden_hostcall_buffer
    .group_segment_fixed_size: 0
    .kernarg_segment_align: 8
    .kernarg_segment_size: 320
    .language:       OpenCL C
    .language_version:
      - 2
      - 0
    .max_flat_workgroup_size: 1024
    .name:           _Z13wvSplitKQ_hf_I6__halfN3c1015Float8_e4m3fnuzELi64ELi7ELi16ELi16ELi1ELi3EEviiiPKT0_S5_PT_PKfS9_ii
    .private_segment_fixed_size: 64
    .sgpr_count:     36
    .sgpr_spill_count: 0
    .symbol:         _Z13wvSplitKQ_hf_I6__halfN3c1015Float8_e4m3fnuzELi64ELi7ELi16ELi16ELi1ELi3EEviiiPKT0_S5_PT_PKfS9_ii.kd
    .uniform_work_group_size: 1
    .uses_dynamic_stack: false
    .vgpr_count:     50
    .vgpr_spill_count: 0
    .wavefront_size: 32
    .workgroup_processor_mode: 1
  - .args:
      - .offset:         0
        .size:           4
        .value_kind:     by_value
      - .offset:         4
        .size:           4
        .value_kind:     by_value
      - .offset:         8
        .size:           4
        .value_kind:     by_value
      - .address_space:  global
        .offset:         16
        .size:           8
        .value_kind:     global_buffer
      - .actual_access:  read_only
        .address_space:  global
        .offset:         24
        .size:           8
        .value_kind:     global_buffer
      - .address_space:  global
        .offset:         32
        .size:           8
        .value_kind:     global_buffer
      - .actual_access:  read_only
        .address_space:  global
        .offset:         40
        .size:           8
        .value_kind:     global_buffer
      - .actual_access:  read_only
        .address_space:  global
        .offset:         48
        .size:           8
        .value_kind:     global_buffer
      - .offset:         56
        .size:           4
        .value_kind:     by_value
      - .offset:         60
        .size:           4
        .value_kind:     by_value
      - .offset:         64
        .size:           4
        .value_kind:     hidden_block_count_x
      - .offset:         68
        .size:           4
        .value_kind:     hidden_block_count_y
      - .offset:         72
        .size:           4
        .value_kind:     hidden_block_count_z
      - .offset:         76
        .size:           2
        .value_kind:     hidden_group_size_x
      - .offset:         78
        .size:           2
        .value_kind:     hidden_group_size_y
      - .offset:         80
        .size:           2
        .value_kind:     hidden_group_size_z
      - .offset:         82
        .size:           2
        .value_kind:     hidden_remainder_x
      - .offset:         84
        .size:           2
        .value_kind:     hidden_remainder_y
      - .offset:         86
        .size:           2
        .value_kind:     hidden_remainder_z
      - .offset:         104
        .size:           8
        .value_kind:     hidden_global_offset_x
      - .offset:         112
        .size:           8
        .value_kind:     hidden_global_offset_y
      - .offset:         120
        .size:           8
        .value_kind:     hidden_global_offset_z
      - .offset:         128
        .size:           2
        .value_kind:     hidden_grid_dims
      - .offset:         144
        .size:           8
        .value_kind:     hidden_hostcall_buffer
    .group_segment_fixed_size: 0
    .kernarg_segment_align: 8
    .kernarg_segment_size: 320
    .language:       OpenCL C
    .language_version:
      - 2
      - 0
    .max_flat_workgroup_size: 1024
    .name:           _Z17wvSplitKQ_hf_sml_I6__halfN3c1015Float8_e4m3fnuzELi64ELi4ELi16ELi16ELi1ELi4EEviiiPKT0_S5_PT_PKfS9_ii
    .private_segment_fixed_size: 64
    .sgpr_count:     36
    .sgpr_spill_count: 0
    .symbol:         _Z17wvSplitKQ_hf_sml_I6__halfN3c1015Float8_e4m3fnuzELi64ELi4ELi16ELi16ELi1ELi4EEviiiPKT0_S5_PT_PKfS9_ii.kd
    .uniform_work_group_size: 1
    .uses_dynamic_stack: false
    .vgpr_count:     50
    .vgpr_spill_count: 0
    .wavefront_size: 32
    .workgroup_processor_mode: 1
  - .args:
      - .offset:         0
        .size:           4
        .value_kind:     by_value
      - .offset:         4
        .size:           4
        .value_kind:     by_value
      - .offset:         8
        .size:           4
        .value_kind:     by_value
      - .address_space:  global
        .offset:         16
        .size:           8
        .value_kind:     global_buffer
      - .actual_access:  read_only
        .address_space:  global
        .offset:         24
        .size:           8
        .value_kind:     global_buffer
      - .address_space:  global
        .offset:         32
        .size:           8
        .value_kind:     global_buffer
      - .actual_access:  read_only
        .address_space:  global
        .offset:         40
        .size:           8
        .value_kind:     global_buffer
      - .actual_access:  read_only
        .address_space:  global
        .offset:         48
        .size:           8
        .value_kind:     global_buffer
      - .offset:         56
        .size:           4
        .value_kind:     by_value
      - .offset:         60
        .size:           4
        .value_kind:     by_value
      - .offset:         64
        .size:           4
        .value_kind:     hidden_block_count_x
      - .offset:         68
        .size:           4
        .value_kind:     hidden_block_count_y
      - .offset:         72
        .size:           4
        .value_kind:     hidden_block_count_z
      - .offset:         76
        .size:           2
        .value_kind:     hidden_group_size_x
      - .offset:         78
        .size:           2
        .value_kind:     hidden_group_size_y
      - .offset:         80
        .size:           2
        .value_kind:     hidden_group_size_z
      - .offset:         82
        .size:           2
        .value_kind:     hidden_remainder_x
      - .offset:         84
        .size:           2
        .value_kind:     hidden_remainder_y
      - .offset:         86
        .size:           2
        .value_kind:     hidden_remainder_z
      - .offset:         104
        .size:           8
        .value_kind:     hidden_global_offset_x
      - .offset:         112
        .size:           8
        .value_kind:     hidden_global_offset_y
      - .offset:         120
        .size:           8
        .value_kind:     hidden_global_offset_z
      - .offset:         128
        .size:           2
        .value_kind:     hidden_grid_dims
      - .offset:         144
        .size:           8
        .value_kind:     hidden_hostcall_buffer
    .group_segment_fixed_size: 0
    .kernarg_segment_align: 8
    .kernarg_segment_size: 320
    .language:       OpenCL C
    .language_version:
      - 2
      - 0
    .max_flat_workgroup_size: 1024
    .name:           _Z13wvSplitKQ_hf_I6__halfN3c1015Float8_e4m3fnuzELi64ELi7ELi16ELi16ELi1ELi4EEviiiPKT0_S5_PT_PKfS9_ii
    .private_segment_fixed_size: 64
    .sgpr_count:     36
    .sgpr_spill_count: 0
    .symbol:         _Z13wvSplitKQ_hf_I6__halfN3c1015Float8_e4m3fnuzELi64ELi7ELi16ELi16ELi1ELi4EEviiiPKT0_S5_PT_PKfS9_ii.kd
    .uniform_work_group_size: 1
    .uses_dynamic_stack: false
    .vgpr_count:     50
    .vgpr_spill_count: 0
    .wavefront_size: 32
    .workgroup_processor_mode: 1
  - .args:
      - .offset:         0
        .size:           4
        .value_kind:     by_value
      - .offset:         4
        .size:           4
        .value_kind:     by_value
      - .offset:         8
        .size:           4
        .value_kind:     by_value
      - .address_space:  global
        .offset:         16
        .size:           8
        .value_kind:     global_buffer
      - .actual_access:  read_only
        .address_space:  global
        .offset:         24
        .size:           8
        .value_kind:     global_buffer
      - .address_space:  global
        .offset:         32
        .size:           8
        .value_kind:     global_buffer
      - .actual_access:  read_only
        .address_space:  global
        .offset:         40
        .size:           8
        .value_kind:     global_buffer
      - .actual_access:  read_only
        .address_space:  global
        .offset:         48
        .size:           8
        .value_kind:     global_buffer
      - .offset:         56
        .size:           4
        .value_kind:     by_value
      - .offset:         60
        .size:           4
        .value_kind:     by_value
      - .offset:         64
        .size:           4
        .value_kind:     hidden_block_count_x
      - .offset:         68
        .size:           4
        .value_kind:     hidden_block_count_y
      - .offset:         72
        .size:           4
        .value_kind:     hidden_block_count_z
      - .offset:         76
        .size:           2
        .value_kind:     hidden_group_size_x
      - .offset:         78
        .size:           2
        .value_kind:     hidden_group_size_y
      - .offset:         80
        .size:           2
        .value_kind:     hidden_group_size_z
      - .offset:         82
        .size:           2
        .value_kind:     hidden_remainder_x
      - .offset:         84
        .size:           2
        .value_kind:     hidden_remainder_y
      - .offset:         86
        .size:           2
        .value_kind:     hidden_remainder_z
      - .offset:         104
        .size:           8
        .value_kind:     hidden_global_offset_x
      - .offset:         112
        .size:           8
        .value_kind:     hidden_global_offset_y
      - .offset:         120
        .size:           8
        .value_kind:     hidden_global_offset_z
      - .offset:         128
        .size:           2
        .value_kind:     hidden_grid_dims
      - .offset:         144
        .size:           8
        .value_kind:     hidden_hostcall_buffer
    .group_segment_fixed_size: 0
    .kernarg_segment_align: 8
    .kernarg_segment_size: 320
    .language:       OpenCL C
    .language_version:
      - 2
      - 0
    .max_flat_workgroup_size: 1024
    .name:           _Z17wvSplitKQ_hf_sml_I14__hip_bfloat16N3c1013Float8_e4m3fnELi64ELi2ELi16ELi16ELi2ELi1EEviiiPKT0_S5_PT_PKfS9_ii
    .private_segment_fixed_size: 64
    .sgpr_count:     36
    .sgpr_spill_count: 0
    .symbol:         _Z17wvSplitKQ_hf_sml_I14__hip_bfloat16N3c1013Float8_e4m3fnELi64ELi2ELi16ELi16ELi2ELi1EEviiiPKT0_S5_PT_PKfS9_ii.kd
    .uniform_work_group_size: 1
    .uses_dynamic_stack: false
    .vgpr_count:     50
    .vgpr_spill_count: 0
    .wavefront_size: 32
    .workgroup_processor_mode: 1
  - .args:
      - .offset:         0
        .size:           4
        .value_kind:     by_value
      - .offset:         4
        .size:           4
        .value_kind:     by_value
      - .offset:         8
        .size:           4
        .value_kind:     by_value
      - .address_space:  global
        .offset:         16
        .size:           8
        .value_kind:     global_buffer
      - .actual_access:  read_only
        .address_space:  global
        .offset:         24
        .size:           8
        .value_kind:     global_buffer
      - .address_space:  global
        .offset:         32
        .size:           8
        .value_kind:     global_buffer
      - .actual_access:  read_only
        .address_space:  global
        .offset:         40
        .size:           8
        .value_kind:     global_buffer
      - .actual_access:  read_only
        .address_space:  global
        .offset:         48
        .size:           8
        .value_kind:     global_buffer
      - .offset:         56
        .size:           4
        .value_kind:     by_value
      - .offset:         60
        .size:           4
        .value_kind:     by_value
      - .offset:         64
        .size:           4
        .value_kind:     hidden_block_count_x
      - .offset:         68
        .size:           4
        .value_kind:     hidden_block_count_y
      - .offset:         72
        .size:           4
        .value_kind:     hidden_block_count_z
      - .offset:         76
        .size:           2
        .value_kind:     hidden_group_size_x
      - .offset:         78
        .size:           2
        .value_kind:     hidden_group_size_y
      - .offset:         80
        .size:           2
        .value_kind:     hidden_group_size_z
      - .offset:         82
        .size:           2
        .value_kind:     hidden_remainder_x
      - .offset:         84
        .size:           2
        .value_kind:     hidden_remainder_y
      - .offset:         86
        .size:           2
        .value_kind:     hidden_remainder_z
      - .offset:         104
        .size:           8
        .value_kind:     hidden_global_offset_x
      - .offset:         112
        .size:           8
        .value_kind:     hidden_global_offset_y
      - .offset:         120
        .size:           8
        .value_kind:     hidden_global_offset_z
      - .offset:         128
        .size:           2
        .value_kind:     hidden_grid_dims
      - .offset:         144
        .size:           8
        .value_kind:     hidden_hostcall_buffer
    .group_segment_fixed_size: 0
    .kernarg_segment_align: 8
    .kernarg_segment_size: 320
    .language:       OpenCL C
    .language_version:
      - 2
      - 0
    .max_flat_workgroup_size: 1024
    .name:           _Z13wvSplitKQ_hf_I14__hip_bfloat16N3c1013Float8_e4m3fnELi64ELi2ELi16ELi16ELi2ELi1EEviiiPKT0_S5_PT_PKfS9_ii
    .private_segment_fixed_size: 64
    .sgpr_count:     36
    .sgpr_spill_count: 0
    .symbol:         _Z13wvSplitKQ_hf_I14__hip_bfloat16N3c1013Float8_e4m3fnELi64ELi2ELi16ELi16ELi2ELi1EEviiiPKT0_S5_PT_PKfS9_ii.kd
    .uniform_work_group_size: 1
    .uses_dynamic_stack: false
    .vgpr_count:     50
    .vgpr_spill_count: 0
    .wavefront_size: 32
    .workgroup_processor_mode: 1
  - .args:
      - .offset:         0
        .size:           4
        .value_kind:     by_value
      - .offset:         4
        .size:           4
        .value_kind:     by_value
      - .offset:         8
        .size:           4
        .value_kind:     by_value
      - .address_space:  global
        .offset:         16
        .size:           8
        .value_kind:     global_buffer
      - .actual_access:  read_only
        .address_space:  global
        .offset:         24
        .size:           8
        .value_kind:     global_buffer
      - .address_space:  global
        .offset:         32
        .size:           8
        .value_kind:     global_buffer
      - .actual_access:  read_only
        .address_space:  global
        .offset:         40
        .size:           8
        .value_kind:     global_buffer
      - .actual_access:  read_only
        .address_space:  global
        .offset:         48
        .size:           8
        .value_kind:     global_buffer
      - .offset:         56
        .size:           4
        .value_kind:     by_value
      - .offset:         60
        .size:           4
        .value_kind:     by_value
      - .offset:         64
        .size:           4
        .value_kind:     hidden_block_count_x
      - .offset:         68
        .size:           4
        .value_kind:     hidden_block_count_y
      - .offset:         72
        .size:           4
        .value_kind:     hidden_block_count_z
      - .offset:         76
        .size:           2
        .value_kind:     hidden_group_size_x
      - .offset:         78
        .size:           2
        .value_kind:     hidden_group_size_y
      - .offset:         80
        .size:           2
        .value_kind:     hidden_group_size_z
      - .offset:         82
        .size:           2
        .value_kind:     hidden_remainder_x
      - .offset:         84
        .size:           2
        .value_kind:     hidden_remainder_y
      - .offset:         86
        .size:           2
        .value_kind:     hidden_remainder_z
      - .offset:         104
        .size:           8
        .value_kind:     hidden_global_offset_x
      - .offset:         112
        .size:           8
        .value_kind:     hidden_global_offset_y
      - .offset:         120
        .size:           8
        .value_kind:     hidden_global_offset_z
      - .offset:         128
        .size:           2
        .value_kind:     hidden_grid_dims
      - .offset:         144
        .size:           8
        .value_kind:     hidden_hostcall_buffer
    .group_segment_fixed_size: 0
    .kernarg_segment_align: 8
    .kernarg_segment_size: 320
    .language:       OpenCL C
    .language_version:
      - 2
      - 0
    .max_flat_workgroup_size: 1024
    .name:           _Z17wvSplitKQ_hf_sml_I14__hip_bfloat16N3c1013Float8_e4m3fnELi64ELi2ELi16ELi16ELi2ELi2EEviiiPKT0_S5_PT_PKfS9_ii
    .private_segment_fixed_size: 64
    .sgpr_count:     36
    .sgpr_spill_count: 0
    .symbol:         _Z17wvSplitKQ_hf_sml_I14__hip_bfloat16N3c1013Float8_e4m3fnELi64ELi2ELi16ELi16ELi2ELi2EEviiiPKT0_S5_PT_PKfS9_ii.kd
    .uniform_work_group_size: 1
    .uses_dynamic_stack: false
    .vgpr_count:     50
    .vgpr_spill_count: 0
    .wavefront_size: 32
    .workgroup_processor_mode: 1
  - .args:
      - .offset:         0
        .size:           4
        .value_kind:     by_value
      - .offset:         4
        .size:           4
        .value_kind:     by_value
      - .offset:         8
        .size:           4
        .value_kind:     by_value
      - .address_space:  global
        .offset:         16
        .size:           8
        .value_kind:     global_buffer
      - .actual_access:  read_only
        .address_space:  global
        .offset:         24
        .size:           8
        .value_kind:     global_buffer
      - .address_space:  global
        .offset:         32
        .size:           8
        .value_kind:     global_buffer
      - .actual_access:  read_only
        .address_space:  global
        .offset:         40
        .size:           8
        .value_kind:     global_buffer
      - .actual_access:  read_only
        .address_space:  global
        .offset:         48
        .size:           8
        .value_kind:     global_buffer
      - .offset:         56
        .size:           4
        .value_kind:     by_value
      - .offset:         60
        .size:           4
        .value_kind:     by_value
      - .offset:         64
        .size:           4
        .value_kind:     hidden_block_count_x
      - .offset:         68
        .size:           4
        .value_kind:     hidden_block_count_y
      - .offset:         72
        .size:           4
        .value_kind:     hidden_block_count_z
      - .offset:         76
        .size:           2
        .value_kind:     hidden_group_size_x
      - .offset:         78
        .size:           2
        .value_kind:     hidden_group_size_y
      - .offset:         80
        .size:           2
        .value_kind:     hidden_group_size_z
      - .offset:         82
        .size:           2
        .value_kind:     hidden_remainder_x
      - .offset:         84
        .size:           2
        .value_kind:     hidden_remainder_y
      - .offset:         86
        .size:           2
        .value_kind:     hidden_remainder_z
      - .offset:         104
        .size:           8
        .value_kind:     hidden_global_offset_x
      - .offset:         112
        .size:           8
        .value_kind:     hidden_global_offset_y
      - .offset:         120
        .size:           8
        .value_kind:     hidden_global_offset_z
      - .offset:         128
        .size:           2
        .value_kind:     hidden_grid_dims
      - .offset:         144
        .size:           8
        .value_kind:     hidden_hostcall_buffer
    .group_segment_fixed_size: 0
    .kernarg_segment_align: 8
    .kernarg_segment_size: 320
    .language:       OpenCL C
    .language_version:
      - 2
      - 0
    .max_flat_workgroup_size: 1024
    .name:           _Z13wvSplitKQ_hf_I14__hip_bfloat16N3c1013Float8_e4m3fnELi64ELi2ELi16ELi16ELi2ELi2EEviiiPKT0_S5_PT_PKfS9_ii
    .private_segment_fixed_size: 64
    .sgpr_count:     36
    .sgpr_spill_count: 0
    .symbol:         _Z13wvSplitKQ_hf_I14__hip_bfloat16N3c1013Float8_e4m3fnELi64ELi2ELi16ELi16ELi2ELi2EEviiiPKT0_S5_PT_PKfS9_ii.kd
    .uniform_work_group_size: 1
    .uses_dynamic_stack: false
    .vgpr_count:     50
    .vgpr_spill_count: 0
    .wavefront_size: 32
    .workgroup_processor_mode: 1
  - .args:
      - .offset:         0
        .size:           4
        .value_kind:     by_value
      - .offset:         4
        .size:           4
        .value_kind:     by_value
      - .offset:         8
        .size:           4
        .value_kind:     by_value
      - .address_space:  global
        .offset:         16
        .size:           8
        .value_kind:     global_buffer
      - .actual_access:  read_only
        .address_space:  global
        .offset:         24
        .size:           8
        .value_kind:     global_buffer
      - .address_space:  global
        .offset:         32
        .size:           8
        .value_kind:     global_buffer
      - .actual_access:  read_only
        .address_space:  global
        .offset:         40
        .size:           8
        .value_kind:     global_buffer
      - .actual_access:  read_only
        .address_space:  global
        .offset:         48
        .size:           8
        .value_kind:     global_buffer
      - .offset:         56
        .size:           4
        .value_kind:     by_value
      - .offset:         60
        .size:           4
        .value_kind:     by_value
      - .offset:         64
        .size:           4
        .value_kind:     hidden_block_count_x
      - .offset:         68
        .size:           4
        .value_kind:     hidden_block_count_y
      - .offset:         72
        .size:           4
        .value_kind:     hidden_block_count_z
      - .offset:         76
        .size:           2
        .value_kind:     hidden_group_size_x
      - .offset:         78
        .size:           2
        .value_kind:     hidden_group_size_y
      - .offset:         80
        .size:           2
        .value_kind:     hidden_group_size_z
      - .offset:         82
        .size:           2
        .value_kind:     hidden_remainder_x
      - .offset:         84
        .size:           2
        .value_kind:     hidden_remainder_y
      - .offset:         86
        .size:           2
        .value_kind:     hidden_remainder_z
      - .offset:         104
        .size:           8
        .value_kind:     hidden_global_offset_x
      - .offset:         112
        .size:           8
        .value_kind:     hidden_global_offset_y
      - .offset:         120
        .size:           8
        .value_kind:     hidden_global_offset_z
      - .offset:         128
        .size:           2
        .value_kind:     hidden_grid_dims
      - .offset:         144
        .size:           8
        .value_kind:     hidden_hostcall_buffer
    .group_segment_fixed_size: 0
    .kernarg_segment_align: 8
    .kernarg_segment_size: 320
    .language:       OpenCL C
    .language_version:
      - 2
      - 0
    .max_flat_workgroup_size: 1024
    .name:           _Z17wvSplitKQ_hf_sml_I14__hip_bfloat16N3c1013Float8_e4m3fnELi64ELi4ELi16ELi16ELi1ELi3EEviiiPKT0_S5_PT_PKfS9_ii
    .private_segment_fixed_size: 64
    .sgpr_count:     36
    .sgpr_spill_count: 0
    .symbol:         _Z17wvSplitKQ_hf_sml_I14__hip_bfloat16N3c1013Float8_e4m3fnELi64ELi4ELi16ELi16ELi1ELi3EEviiiPKT0_S5_PT_PKfS9_ii.kd
    .uniform_work_group_size: 1
    .uses_dynamic_stack: false
    .vgpr_count:     50
    .vgpr_spill_count: 0
    .wavefront_size: 32
    .workgroup_processor_mode: 1
  - .args:
      - .offset:         0
        .size:           4
        .value_kind:     by_value
      - .offset:         4
        .size:           4
        .value_kind:     by_value
      - .offset:         8
        .size:           4
        .value_kind:     by_value
      - .address_space:  global
        .offset:         16
        .size:           8
        .value_kind:     global_buffer
      - .actual_access:  read_only
        .address_space:  global
        .offset:         24
        .size:           8
        .value_kind:     global_buffer
      - .address_space:  global
        .offset:         32
        .size:           8
        .value_kind:     global_buffer
      - .actual_access:  read_only
        .address_space:  global
        .offset:         40
        .size:           8
        .value_kind:     global_buffer
      - .actual_access:  read_only
        .address_space:  global
        .offset:         48
        .size:           8
        .value_kind:     global_buffer
      - .offset:         56
        .size:           4
        .value_kind:     by_value
      - .offset:         60
        .size:           4
        .value_kind:     by_value
      - .offset:         64
        .size:           4
        .value_kind:     hidden_block_count_x
      - .offset:         68
        .size:           4
        .value_kind:     hidden_block_count_y
      - .offset:         72
        .size:           4
        .value_kind:     hidden_block_count_z
      - .offset:         76
        .size:           2
        .value_kind:     hidden_group_size_x
      - .offset:         78
        .size:           2
        .value_kind:     hidden_group_size_y
      - .offset:         80
        .size:           2
        .value_kind:     hidden_group_size_z
      - .offset:         82
        .size:           2
        .value_kind:     hidden_remainder_x
      - .offset:         84
        .size:           2
        .value_kind:     hidden_remainder_y
      - .offset:         86
        .size:           2
        .value_kind:     hidden_remainder_z
      - .offset:         104
        .size:           8
        .value_kind:     hidden_global_offset_x
      - .offset:         112
        .size:           8
        .value_kind:     hidden_global_offset_y
      - .offset:         120
        .size:           8
        .value_kind:     hidden_global_offset_z
      - .offset:         128
        .size:           2
        .value_kind:     hidden_grid_dims
      - .offset:         144
        .size:           8
        .value_kind:     hidden_hostcall_buffer
    .group_segment_fixed_size: 0
    .kernarg_segment_align: 8
    .kernarg_segment_size: 320
    .language:       OpenCL C
    .language_version:
      - 2
      - 0
    .max_flat_workgroup_size: 1024
    .name:           _Z13wvSplitKQ_hf_I14__hip_bfloat16N3c1013Float8_e4m3fnELi64ELi7ELi16ELi16ELi1ELi3EEviiiPKT0_S5_PT_PKfS9_ii
    .private_segment_fixed_size: 64
    .sgpr_count:     36
    .sgpr_spill_count: 0
    .symbol:         _Z13wvSplitKQ_hf_I14__hip_bfloat16N3c1013Float8_e4m3fnELi64ELi7ELi16ELi16ELi1ELi3EEviiiPKT0_S5_PT_PKfS9_ii.kd
    .uniform_work_group_size: 1
    .uses_dynamic_stack: false
    .vgpr_count:     50
    .vgpr_spill_count: 0
    .wavefront_size: 32
    .workgroup_processor_mode: 1
  - .args:
      - .offset:         0
        .size:           4
        .value_kind:     by_value
      - .offset:         4
        .size:           4
        .value_kind:     by_value
      - .offset:         8
        .size:           4
        .value_kind:     by_value
      - .address_space:  global
        .offset:         16
        .size:           8
        .value_kind:     global_buffer
      - .actual_access:  read_only
        .address_space:  global
        .offset:         24
        .size:           8
        .value_kind:     global_buffer
      - .address_space:  global
        .offset:         32
        .size:           8
        .value_kind:     global_buffer
      - .actual_access:  read_only
        .address_space:  global
        .offset:         40
        .size:           8
        .value_kind:     global_buffer
      - .actual_access:  read_only
        .address_space:  global
        .offset:         48
        .size:           8
        .value_kind:     global_buffer
      - .offset:         56
        .size:           4
        .value_kind:     by_value
      - .offset:         60
        .size:           4
        .value_kind:     by_value
      - .offset:         64
        .size:           4
        .value_kind:     hidden_block_count_x
      - .offset:         68
        .size:           4
        .value_kind:     hidden_block_count_y
      - .offset:         72
        .size:           4
        .value_kind:     hidden_block_count_z
      - .offset:         76
        .size:           2
        .value_kind:     hidden_group_size_x
      - .offset:         78
        .size:           2
        .value_kind:     hidden_group_size_y
      - .offset:         80
        .size:           2
        .value_kind:     hidden_group_size_z
      - .offset:         82
        .size:           2
        .value_kind:     hidden_remainder_x
      - .offset:         84
        .size:           2
        .value_kind:     hidden_remainder_y
      - .offset:         86
        .size:           2
        .value_kind:     hidden_remainder_z
      - .offset:         104
        .size:           8
        .value_kind:     hidden_global_offset_x
      - .offset:         112
        .size:           8
        .value_kind:     hidden_global_offset_y
      - .offset:         120
        .size:           8
        .value_kind:     hidden_global_offset_z
      - .offset:         128
        .size:           2
        .value_kind:     hidden_grid_dims
      - .offset:         144
        .size:           8
        .value_kind:     hidden_hostcall_buffer
    .group_segment_fixed_size: 0
    .kernarg_segment_align: 8
    .kernarg_segment_size: 320
    .language:       OpenCL C
    .language_version:
      - 2
      - 0
    .max_flat_workgroup_size: 1024
    .name:           _Z17wvSplitKQ_hf_sml_I14__hip_bfloat16N3c1013Float8_e4m3fnELi64ELi4ELi16ELi16ELi1ELi4EEviiiPKT0_S5_PT_PKfS9_ii
    .private_segment_fixed_size: 64
    .sgpr_count:     36
    .sgpr_spill_count: 0
    .symbol:         _Z17wvSplitKQ_hf_sml_I14__hip_bfloat16N3c1013Float8_e4m3fnELi64ELi4ELi16ELi16ELi1ELi4EEviiiPKT0_S5_PT_PKfS9_ii.kd
    .uniform_work_group_size: 1
    .uses_dynamic_stack: false
    .vgpr_count:     50
    .vgpr_spill_count: 0
    .wavefront_size: 32
    .workgroup_processor_mode: 1
  - .args:
      - .offset:         0
        .size:           4
        .value_kind:     by_value
      - .offset:         4
        .size:           4
        .value_kind:     by_value
      - .offset:         8
        .size:           4
        .value_kind:     by_value
      - .address_space:  global
        .offset:         16
        .size:           8
        .value_kind:     global_buffer
      - .actual_access:  read_only
        .address_space:  global
        .offset:         24
        .size:           8
        .value_kind:     global_buffer
      - .address_space:  global
        .offset:         32
        .size:           8
        .value_kind:     global_buffer
      - .actual_access:  read_only
        .address_space:  global
        .offset:         40
        .size:           8
        .value_kind:     global_buffer
      - .actual_access:  read_only
        .address_space:  global
        .offset:         48
        .size:           8
        .value_kind:     global_buffer
      - .offset:         56
        .size:           4
        .value_kind:     by_value
      - .offset:         60
        .size:           4
        .value_kind:     by_value
      - .offset:         64
        .size:           4
        .value_kind:     hidden_block_count_x
      - .offset:         68
        .size:           4
        .value_kind:     hidden_block_count_y
      - .offset:         72
        .size:           4
        .value_kind:     hidden_block_count_z
      - .offset:         76
        .size:           2
        .value_kind:     hidden_group_size_x
      - .offset:         78
        .size:           2
        .value_kind:     hidden_group_size_y
      - .offset:         80
        .size:           2
        .value_kind:     hidden_group_size_z
      - .offset:         82
        .size:           2
        .value_kind:     hidden_remainder_x
      - .offset:         84
        .size:           2
        .value_kind:     hidden_remainder_y
      - .offset:         86
        .size:           2
        .value_kind:     hidden_remainder_z
      - .offset:         104
        .size:           8
        .value_kind:     hidden_global_offset_x
      - .offset:         112
        .size:           8
        .value_kind:     hidden_global_offset_y
      - .offset:         120
        .size:           8
        .value_kind:     hidden_global_offset_z
      - .offset:         128
        .size:           2
        .value_kind:     hidden_grid_dims
      - .offset:         144
        .size:           8
        .value_kind:     hidden_hostcall_buffer
    .group_segment_fixed_size: 0
    .kernarg_segment_align: 8
    .kernarg_segment_size: 320
    .language:       OpenCL C
    .language_version:
      - 2
      - 0
    .max_flat_workgroup_size: 1024
    .name:           _Z13wvSplitKQ_hf_I14__hip_bfloat16N3c1013Float8_e4m3fnELi64ELi7ELi16ELi16ELi1ELi4EEviiiPKT0_S5_PT_PKfS9_ii
    .private_segment_fixed_size: 64
    .sgpr_count:     36
    .sgpr_spill_count: 0
    .symbol:         _Z13wvSplitKQ_hf_I14__hip_bfloat16N3c1013Float8_e4m3fnELi64ELi7ELi16ELi16ELi1ELi4EEviiiPKT0_S5_PT_PKfS9_ii.kd
    .uniform_work_group_size: 1
    .uses_dynamic_stack: false
    .vgpr_count:     50
    .vgpr_spill_count: 0
    .wavefront_size: 32
    .workgroup_processor_mode: 1
  - .args:
      - .offset:         0
        .size:           4
        .value_kind:     by_value
      - .offset:         4
        .size:           4
        .value_kind:     by_value
      - .offset:         8
        .size:           4
        .value_kind:     by_value
      - .address_space:  global
        .offset:         16
        .size:           8
        .value_kind:     global_buffer
      - .actual_access:  read_only
        .address_space:  global
        .offset:         24
        .size:           8
        .value_kind:     global_buffer
      - .address_space:  global
        .offset:         32
        .size:           8
        .value_kind:     global_buffer
      - .actual_access:  read_only
        .address_space:  global
        .offset:         40
        .size:           8
        .value_kind:     global_buffer
      - .actual_access:  read_only
        .address_space:  global
        .offset:         48
        .size:           8
        .value_kind:     global_buffer
      - .offset:         56
        .size:           4
        .value_kind:     by_value
      - .offset:         60
        .size:           4
        .value_kind:     by_value
      - .offset:         64
        .size:           4
        .value_kind:     hidden_block_count_x
      - .offset:         68
        .size:           4
        .value_kind:     hidden_block_count_y
      - .offset:         72
        .size:           4
        .value_kind:     hidden_block_count_z
      - .offset:         76
        .size:           2
        .value_kind:     hidden_group_size_x
      - .offset:         78
        .size:           2
        .value_kind:     hidden_group_size_y
      - .offset:         80
        .size:           2
        .value_kind:     hidden_group_size_z
      - .offset:         82
        .size:           2
        .value_kind:     hidden_remainder_x
      - .offset:         84
        .size:           2
        .value_kind:     hidden_remainder_y
      - .offset:         86
        .size:           2
        .value_kind:     hidden_remainder_z
      - .offset:         104
        .size:           8
        .value_kind:     hidden_global_offset_x
      - .offset:         112
        .size:           8
        .value_kind:     hidden_global_offset_y
      - .offset:         120
        .size:           8
        .value_kind:     hidden_global_offset_z
      - .offset:         128
        .size:           2
        .value_kind:     hidden_grid_dims
      - .offset:         144
        .size:           8
        .value_kind:     hidden_hostcall_buffer
    .group_segment_fixed_size: 0
    .kernarg_segment_align: 8
    .kernarg_segment_size: 320
    .language:       OpenCL C
    .language_version:
      - 2
      - 0
    .max_flat_workgroup_size: 1024
    .name:           _Z17wvSplitKQ_hf_sml_I14__hip_bfloat16N3c1015Float8_e4m3fnuzELi64ELi2ELi16ELi16ELi2ELi1EEviiiPKT0_S5_PT_PKfS9_ii
    .private_segment_fixed_size: 64
    .sgpr_count:     36
    .sgpr_spill_count: 0
    .symbol:         _Z17wvSplitKQ_hf_sml_I14__hip_bfloat16N3c1015Float8_e4m3fnuzELi64ELi2ELi16ELi16ELi2ELi1EEviiiPKT0_S5_PT_PKfS9_ii.kd
    .uniform_work_group_size: 1
    .uses_dynamic_stack: false
    .vgpr_count:     50
    .vgpr_spill_count: 0
    .wavefront_size: 32
    .workgroup_processor_mode: 1
  - .args:
      - .offset:         0
        .size:           4
        .value_kind:     by_value
      - .offset:         4
        .size:           4
        .value_kind:     by_value
      - .offset:         8
        .size:           4
        .value_kind:     by_value
      - .address_space:  global
        .offset:         16
        .size:           8
        .value_kind:     global_buffer
      - .actual_access:  read_only
        .address_space:  global
        .offset:         24
        .size:           8
        .value_kind:     global_buffer
      - .address_space:  global
        .offset:         32
        .size:           8
        .value_kind:     global_buffer
      - .actual_access:  read_only
        .address_space:  global
        .offset:         40
        .size:           8
        .value_kind:     global_buffer
      - .actual_access:  read_only
        .address_space:  global
        .offset:         48
        .size:           8
        .value_kind:     global_buffer
      - .offset:         56
        .size:           4
        .value_kind:     by_value
      - .offset:         60
        .size:           4
        .value_kind:     by_value
      - .offset:         64
        .size:           4
        .value_kind:     hidden_block_count_x
      - .offset:         68
        .size:           4
        .value_kind:     hidden_block_count_y
      - .offset:         72
        .size:           4
        .value_kind:     hidden_block_count_z
      - .offset:         76
        .size:           2
        .value_kind:     hidden_group_size_x
      - .offset:         78
        .size:           2
        .value_kind:     hidden_group_size_y
      - .offset:         80
        .size:           2
        .value_kind:     hidden_group_size_z
      - .offset:         82
        .size:           2
        .value_kind:     hidden_remainder_x
      - .offset:         84
        .size:           2
        .value_kind:     hidden_remainder_y
      - .offset:         86
        .size:           2
        .value_kind:     hidden_remainder_z
      - .offset:         104
        .size:           8
        .value_kind:     hidden_global_offset_x
      - .offset:         112
        .size:           8
        .value_kind:     hidden_global_offset_y
      - .offset:         120
        .size:           8
        .value_kind:     hidden_global_offset_z
      - .offset:         128
        .size:           2
        .value_kind:     hidden_grid_dims
      - .offset:         144
        .size:           8
        .value_kind:     hidden_hostcall_buffer
    .group_segment_fixed_size: 0
    .kernarg_segment_align: 8
    .kernarg_segment_size: 320
    .language:       OpenCL C
    .language_version:
      - 2
      - 0
    .max_flat_workgroup_size: 1024
    .name:           _Z13wvSplitKQ_hf_I14__hip_bfloat16N3c1015Float8_e4m3fnuzELi64ELi2ELi16ELi16ELi2ELi1EEviiiPKT0_S5_PT_PKfS9_ii
    .private_segment_fixed_size: 64
    .sgpr_count:     36
    .sgpr_spill_count: 0
    .symbol:         _Z13wvSplitKQ_hf_I14__hip_bfloat16N3c1015Float8_e4m3fnuzELi64ELi2ELi16ELi16ELi2ELi1EEviiiPKT0_S5_PT_PKfS9_ii.kd
    .uniform_work_group_size: 1
    .uses_dynamic_stack: false
    .vgpr_count:     50
    .vgpr_spill_count: 0
    .wavefront_size: 32
    .workgroup_processor_mode: 1
  - .args:
      - .offset:         0
        .size:           4
        .value_kind:     by_value
      - .offset:         4
        .size:           4
        .value_kind:     by_value
      - .offset:         8
        .size:           4
        .value_kind:     by_value
      - .address_space:  global
        .offset:         16
        .size:           8
        .value_kind:     global_buffer
      - .actual_access:  read_only
        .address_space:  global
        .offset:         24
        .size:           8
        .value_kind:     global_buffer
      - .address_space:  global
        .offset:         32
        .size:           8
        .value_kind:     global_buffer
      - .actual_access:  read_only
        .address_space:  global
        .offset:         40
        .size:           8
        .value_kind:     global_buffer
      - .actual_access:  read_only
        .address_space:  global
        .offset:         48
        .size:           8
        .value_kind:     global_buffer
      - .offset:         56
        .size:           4
        .value_kind:     by_value
      - .offset:         60
        .size:           4
        .value_kind:     by_value
      - .offset:         64
        .size:           4
        .value_kind:     hidden_block_count_x
      - .offset:         68
        .size:           4
        .value_kind:     hidden_block_count_y
      - .offset:         72
        .size:           4
        .value_kind:     hidden_block_count_z
      - .offset:         76
        .size:           2
        .value_kind:     hidden_group_size_x
      - .offset:         78
        .size:           2
        .value_kind:     hidden_group_size_y
      - .offset:         80
        .size:           2
        .value_kind:     hidden_group_size_z
      - .offset:         82
        .size:           2
        .value_kind:     hidden_remainder_x
      - .offset:         84
        .size:           2
        .value_kind:     hidden_remainder_y
      - .offset:         86
        .size:           2
        .value_kind:     hidden_remainder_z
      - .offset:         104
        .size:           8
        .value_kind:     hidden_global_offset_x
      - .offset:         112
        .size:           8
        .value_kind:     hidden_global_offset_y
      - .offset:         120
        .size:           8
        .value_kind:     hidden_global_offset_z
      - .offset:         128
        .size:           2
        .value_kind:     hidden_grid_dims
      - .offset:         144
        .size:           8
        .value_kind:     hidden_hostcall_buffer
    .group_segment_fixed_size: 0
    .kernarg_segment_align: 8
    .kernarg_segment_size: 320
    .language:       OpenCL C
    .language_version:
      - 2
      - 0
    .max_flat_workgroup_size: 1024
    .name:           _Z17wvSplitKQ_hf_sml_I14__hip_bfloat16N3c1015Float8_e4m3fnuzELi64ELi2ELi16ELi16ELi2ELi2EEviiiPKT0_S5_PT_PKfS9_ii
    .private_segment_fixed_size: 64
    .sgpr_count:     36
    .sgpr_spill_count: 0
    .symbol:         _Z17wvSplitKQ_hf_sml_I14__hip_bfloat16N3c1015Float8_e4m3fnuzELi64ELi2ELi16ELi16ELi2ELi2EEviiiPKT0_S5_PT_PKfS9_ii.kd
    .uniform_work_group_size: 1
    .uses_dynamic_stack: false
    .vgpr_count:     50
    .vgpr_spill_count: 0
    .wavefront_size: 32
    .workgroup_processor_mode: 1
  - .args:
      - .offset:         0
        .size:           4
        .value_kind:     by_value
      - .offset:         4
        .size:           4
        .value_kind:     by_value
      - .offset:         8
        .size:           4
        .value_kind:     by_value
      - .address_space:  global
        .offset:         16
        .size:           8
        .value_kind:     global_buffer
      - .actual_access:  read_only
        .address_space:  global
        .offset:         24
        .size:           8
        .value_kind:     global_buffer
      - .address_space:  global
        .offset:         32
        .size:           8
        .value_kind:     global_buffer
      - .actual_access:  read_only
        .address_space:  global
        .offset:         40
        .size:           8
        .value_kind:     global_buffer
      - .actual_access:  read_only
        .address_space:  global
        .offset:         48
        .size:           8
        .value_kind:     global_buffer
      - .offset:         56
        .size:           4
        .value_kind:     by_value
      - .offset:         60
        .size:           4
        .value_kind:     by_value
      - .offset:         64
        .size:           4
        .value_kind:     hidden_block_count_x
      - .offset:         68
        .size:           4
        .value_kind:     hidden_block_count_y
      - .offset:         72
        .size:           4
        .value_kind:     hidden_block_count_z
      - .offset:         76
        .size:           2
        .value_kind:     hidden_group_size_x
      - .offset:         78
        .size:           2
        .value_kind:     hidden_group_size_y
      - .offset:         80
        .size:           2
        .value_kind:     hidden_group_size_z
      - .offset:         82
        .size:           2
        .value_kind:     hidden_remainder_x
      - .offset:         84
        .size:           2
        .value_kind:     hidden_remainder_y
      - .offset:         86
        .size:           2
        .value_kind:     hidden_remainder_z
      - .offset:         104
        .size:           8
        .value_kind:     hidden_global_offset_x
      - .offset:         112
        .size:           8
        .value_kind:     hidden_global_offset_y
      - .offset:         120
        .size:           8
        .value_kind:     hidden_global_offset_z
      - .offset:         128
        .size:           2
        .value_kind:     hidden_grid_dims
      - .offset:         144
        .size:           8
        .value_kind:     hidden_hostcall_buffer
    .group_segment_fixed_size: 0
    .kernarg_segment_align: 8
    .kernarg_segment_size: 320
    .language:       OpenCL C
    .language_version:
      - 2
      - 0
    .max_flat_workgroup_size: 1024
    .name:           _Z13wvSplitKQ_hf_I14__hip_bfloat16N3c1015Float8_e4m3fnuzELi64ELi2ELi16ELi16ELi2ELi2EEviiiPKT0_S5_PT_PKfS9_ii
    .private_segment_fixed_size: 64
    .sgpr_count:     36
    .sgpr_spill_count: 0
    .symbol:         _Z13wvSplitKQ_hf_I14__hip_bfloat16N3c1015Float8_e4m3fnuzELi64ELi2ELi16ELi16ELi2ELi2EEviiiPKT0_S5_PT_PKfS9_ii.kd
    .uniform_work_group_size: 1
    .uses_dynamic_stack: false
    .vgpr_count:     50
    .vgpr_spill_count: 0
    .wavefront_size: 32
    .workgroup_processor_mode: 1
  - .args:
      - .offset:         0
        .size:           4
        .value_kind:     by_value
      - .offset:         4
        .size:           4
        .value_kind:     by_value
      - .offset:         8
        .size:           4
        .value_kind:     by_value
      - .address_space:  global
        .offset:         16
        .size:           8
        .value_kind:     global_buffer
      - .actual_access:  read_only
        .address_space:  global
        .offset:         24
        .size:           8
        .value_kind:     global_buffer
      - .address_space:  global
        .offset:         32
        .size:           8
        .value_kind:     global_buffer
      - .actual_access:  read_only
        .address_space:  global
        .offset:         40
        .size:           8
        .value_kind:     global_buffer
      - .actual_access:  read_only
        .address_space:  global
        .offset:         48
        .size:           8
        .value_kind:     global_buffer
      - .offset:         56
        .size:           4
        .value_kind:     by_value
      - .offset:         60
        .size:           4
        .value_kind:     by_value
      - .offset:         64
        .size:           4
        .value_kind:     hidden_block_count_x
      - .offset:         68
        .size:           4
        .value_kind:     hidden_block_count_y
      - .offset:         72
        .size:           4
        .value_kind:     hidden_block_count_z
      - .offset:         76
        .size:           2
        .value_kind:     hidden_group_size_x
      - .offset:         78
        .size:           2
        .value_kind:     hidden_group_size_y
      - .offset:         80
        .size:           2
        .value_kind:     hidden_group_size_z
      - .offset:         82
        .size:           2
        .value_kind:     hidden_remainder_x
      - .offset:         84
        .size:           2
        .value_kind:     hidden_remainder_y
      - .offset:         86
        .size:           2
        .value_kind:     hidden_remainder_z
      - .offset:         104
        .size:           8
        .value_kind:     hidden_global_offset_x
      - .offset:         112
        .size:           8
        .value_kind:     hidden_global_offset_y
      - .offset:         120
        .size:           8
        .value_kind:     hidden_global_offset_z
      - .offset:         128
        .size:           2
        .value_kind:     hidden_grid_dims
      - .offset:         144
        .size:           8
        .value_kind:     hidden_hostcall_buffer
    .group_segment_fixed_size: 0
    .kernarg_segment_align: 8
    .kernarg_segment_size: 320
    .language:       OpenCL C
    .language_version:
      - 2
      - 0
    .max_flat_workgroup_size: 1024
    .name:           _Z17wvSplitKQ_hf_sml_I14__hip_bfloat16N3c1015Float8_e4m3fnuzELi64ELi4ELi16ELi16ELi1ELi3EEviiiPKT0_S5_PT_PKfS9_ii
    .private_segment_fixed_size: 64
    .sgpr_count:     36
    .sgpr_spill_count: 0
    .symbol:         _Z17wvSplitKQ_hf_sml_I14__hip_bfloat16N3c1015Float8_e4m3fnuzELi64ELi4ELi16ELi16ELi1ELi3EEviiiPKT0_S5_PT_PKfS9_ii.kd
    .uniform_work_group_size: 1
    .uses_dynamic_stack: false
    .vgpr_count:     50
    .vgpr_spill_count: 0
    .wavefront_size: 32
    .workgroup_processor_mode: 1
  - .args:
      - .offset:         0
        .size:           4
        .value_kind:     by_value
      - .offset:         4
        .size:           4
        .value_kind:     by_value
      - .offset:         8
        .size:           4
        .value_kind:     by_value
      - .address_space:  global
        .offset:         16
        .size:           8
        .value_kind:     global_buffer
      - .actual_access:  read_only
        .address_space:  global
        .offset:         24
        .size:           8
        .value_kind:     global_buffer
      - .address_space:  global
        .offset:         32
        .size:           8
        .value_kind:     global_buffer
      - .actual_access:  read_only
        .address_space:  global
        .offset:         40
        .size:           8
        .value_kind:     global_buffer
      - .actual_access:  read_only
        .address_space:  global
        .offset:         48
        .size:           8
        .value_kind:     global_buffer
      - .offset:         56
        .size:           4
        .value_kind:     by_value
      - .offset:         60
        .size:           4
        .value_kind:     by_value
      - .offset:         64
        .size:           4
        .value_kind:     hidden_block_count_x
      - .offset:         68
        .size:           4
        .value_kind:     hidden_block_count_y
      - .offset:         72
        .size:           4
        .value_kind:     hidden_block_count_z
      - .offset:         76
        .size:           2
        .value_kind:     hidden_group_size_x
      - .offset:         78
        .size:           2
        .value_kind:     hidden_group_size_y
      - .offset:         80
        .size:           2
        .value_kind:     hidden_group_size_z
      - .offset:         82
        .size:           2
        .value_kind:     hidden_remainder_x
      - .offset:         84
        .size:           2
        .value_kind:     hidden_remainder_y
      - .offset:         86
        .size:           2
        .value_kind:     hidden_remainder_z
      - .offset:         104
        .size:           8
        .value_kind:     hidden_global_offset_x
      - .offset:         112
        .size:           8
        .value_kind:     hidden_global_offset_y
      - .offset:         120
        .size:           8
        .value_kind:     hidden_global_offset_z
      - .offset:         128
        .size:           2
        .value_kind:     hidden_grid_dims
      - .offset:         144
        .size:           8
        .value_kind:     hidden_hostcall_buffer
    .group_segment_fixed_size: 0
    .kernarg_segment_align: 8
    .kernarg_segment_size: 320
    .language:       OpenCL C
    .language_version:
      - 2
      - 0
    .max_flat_workgroup_size: 1024
    .name:           _Z13wvSplitKQ_hf_I14__hip_bfloat16N3c1015Float8_e4m3fnuzELi64ELi7ELi16ELi16ELi1ELi3EEviiiPKT0_S5_PT_PKfS9_ii
    .private_segment_fixed_size: 64
    .sgpr_count:     36
    .sgpr_spill_count: 0
    .symbol:         _Z13wvSplitKQ_hf_I14__hip_bfloat16N3c1015Float8_e4m3fnuzELi64ELi7ELi16ELi16ELi1ELi3EEviiiPKT0_S5_PT_PKfS9_ii.kd
    .uniform_work_group_size: 1
    .uses_dynamic_stack: false
    .vgpr_count:     50
    .vgpr_spill_count: 0
    .wavefront_size: 32
    .workgroup_processor_mode: 1
  - .args:
      - .offset:         0
        .size:           4
        .value_kind:     by_value
      - .offset:         4
        .size:           4
        .value_kind:     by_value
      - .offset:         8
        .size:           4
        .value_kind:     by_value
      - .address_space:  global
        .offset:         16
        .size:           8
        .value_kind:     global_buffer
      - .actual_access:  read_only
        .address_space:  global
        .offset:         24
        .size:           8
        .value_kind:     global_buffer
      - .address_space:  global
        .offset:         32
        .size:           8
        .value_kind:     global_buffer
      - .actual_access:  read_only
        .address_space:  global
        .offset:         40
        .size:           8
        .value_kind:     global_buffer
      - .actual_access:  read_only
        .address_space:  global
        .offset:         48
        .size:           8
        .value_kind:     global_buffer
      - .offset:         56
        .size:           4
        .value_kind:     by_value
      - .offset:         60
        .size:           4
        .value_kind:     by_value
      - .offset:         64
        .size:           4
        .value_kind:     hidden_block_count_x
      - .offset:         68
        .size:           4
        .value_kind:     hidden_block_count_y
      - .offset:         72
        .size:           4
        .value_kind:     hidden_block_count_z
      - .offset:         76
        .size:           2
        .value_kind:     hidden_group_size_x
      - .offset:         78
        .size:           2
        .value_kind:     hidden_group_size_y
      - .offset:         80
        .size:           2
        .value_kind:     hidden_group_size_z
      - .offset:         82
        .size:           2
        .value_kind:     hidden_remainder_x
      - .offset:         84
        .size:           2
        .value_kind:     hidden_remainder_y
      - .offset:         86
        .size:           2
        .value_kind:     hidden_remainder_z
      - .offset:         104
        .size:           8
        .value_kind:     hidden_global_offset_x
      - .offset:         112
        .size:           8
        .value_kind:     hidden_global_offset_y
      - .offset:         120
        .size:           8
        .value_kind:     hidden_global_offset_z
      - .offset:         128
        .size:           2
        .value_kind:     hidden_grid_dims
      - .offset:         144
        .size:           8
        .value_kind:     hidden_hostcall_buffer
    .group_segment_fixed_size: 0
    .kernarg_segment_align: 8
    .kernarg_segment_size: 320
    .language:       OpenCL C
    .language_version:
      - 2
      - 0
    .max_flat_workgroup_size: 1024
    .name:           _Z17wvSplitKQ_hf_sml_I14__hip_bfloat16N3c1015Float8_e4m3fnuzELi64ELi4ELi16ELi16ELi1ELi4EEviiiPKT0_S5_PT_PKfS9_ii
    .private_segment_fixed_size: 64
    .sgpr_count:     36
    .sgpr_spill_count: 0
    .symbol:         _Z17wvSplitKQ_hf_sml_I14__hip_bfloat16N3c1015Float8_e4m3fnuzELi64ELi4ELi16ELi16ELi1ELi4EEviiiPKT0_S5_PT_PKfS9_ii.kd
    .uniform_work_group_size: 1
    .uses_dynamic_stack: false
    .vgpr_count:     50
    .vgpr_spill_count: 0
    .wavefront_size: 32
    .workgroup_processor_mode: 1
  - .args:
      - .offset:         0
        .size:           4
        .value_kind:     by_value
      - .offset:         4
        .size:           4
        .value_kind:     by_value
      - .offset:         8
        .size:           4
        .value_kind:     by_value
      - .address_space:  global
        .offset:         16
        .size:           8
        .value_kind:     global_buffer
      - .actual_access:  read_only
        .address_space:  global
        .offset:         24
        .size:           8
        .value_kind:     global_buffer
      - .address_space:  global
        .offset:         32
        .size:           8
        .value_kind:     global_buffer
      - .actual_access:  read_only
        .address_space:  global
        .offset:         40
        .size:           8
        .value_kind:     global_buffer
      - .actual_access:  read_only
        .address_space:  global
        .offset:         48
        .size:           8
        .value_kind:     global_buffer
      - .offset:         56
        .size:           4
        .value_kind:     by_value
      - .offset:         60
        .size:           4
        .value_kind:     by_value
      - .offset:         64
        .size:           4
        .value_kind:     hidden_block_count_x
      - .offset:         68
        .size:           4
        .value_kind:     hidden_block_count_y
      - .offset:         72
        .size:           4
        .value_kind:     hidden_block_count_z
      - .offset:         76
        .size:           2
        .value_kind:     hidden_group_size_x
      - .offset:         78
        .size:           2
        .value_kind:     hidden_group_size_y
      - .offset:         80
        .size:           2
        .value_kind:     hidden_group_size_z
      - .offset:         82
        .size:           2
        .value_kind:     hidden_remainder_x
      - .offset:         84
        .size:           2
        .value_kind:     hidden_remainder_y
      - .offset:         86
        .size:           2
        .value_kind:     hidden_remainder_z
      - .offset:         104
        .size:           8
        .value_kind:     hidden_global_offset_x
      - .offset:         112
        .size:           8
        .value_kind:     hidden_global_offset_y
      - .offset:         120
        .size:           8
        .value_kind:     hidden_global_offset_z
      - .offset:         128
        .size:           2
        .value_kind:     hidden_grid_dims
      - .offset:         144
        .size:           8
        .value_kind:     hidden_hostcall_buffer
    .group_segment_fixed_size: 0
    .kernarg_segment_align: 8
    .kernarg_segment_size: 320
    .language:       OpenCL C
    .language_version:
      - 2
      - 0
    .max_flat_workgroup_size: 1024
    .name:           _Z13wvSplitKQ_hf_I14__hip_bfloat16N3c1015Float8_e4m3fnuzELi64ELi7ELi16ELi16ELi1ELi4EEviiiPKT0_S5_PT_PKfS9_ii
    .private_segment_fixed_size: 64
    .sgpr_count:     36
    .sgpr_spill_count: 0
    .symbol:         _Z13wvSplitKQ_hf_I14__hip_bfloat16N3c1015Float8_e4m3fnuzELi64ELi7ELi16ELi16ELi1ELi4EEviiiPKT0_S5_PT_PKfS9_ii.kd
    .uniform_work_group_size: 1
    .uses_dynamic_stack: false
    .vgpr_count:     50
    .vgpr_spill_count: 0
    .wavefront_size: 32
    .workgroup_processor_mode: 1
amdhsa.target:   amdgcn-amd-amdhsa--gfx1100
amdhsa.version:
  - 1
  - 2
...

	.end_amdgpu_metadata
